;; amdgpu-corpus repo=ROCm/rocFFT kind=compiled arch=gfx1030 opt=O3
	.text
	.amdgcn_target "amdgcn-amd-amdhsa--gfx1030"
	.amdhsa_code_object_version 6
	.protected	bluestein_single_fwd_len1944_dim1_half_op_CI_CI ; -- Begin function bluestein_single_fwd_len1944_dim1_half_op_CI_CI
	.globl	bluestein_single_fwd_len1944_dim1_half_op_CI_CI
	.p2align	8
	.type	bluestein_single_fwd_len1944_dim1_half_op_CI_CI,@function
bluestein_single_fwd_len1944_dim1_half_op_CI_CI: ; @bluestein_single_fwd_len1944_dim1_half_op_CI_CI
; %bb.0:
	s_load_dwordx4 s[8:11], s[4:5], 0x28
	v_mul_u32_u24_e32 v1, 0x10e, v0
	v_mov_b32_e32 v14, 0
	s_mov_b32 s0, exec_lo
	v_lshrrev_b32_e32 v1, 16, v1
	v_add_nc_u32_e32 v13, s6, v1
	s_waitcnt lgkmcnt(0)
	v_cmpx_gt_u64_e64 s[8:9], v[13:14]
	s_cbranch_execz .LBB0_47
; %bb.1:
	s_clause 0x1
	s_load_dwordx4 s[0:3], s[4:5], 0x18
	s_load_dwordx2 s[6:7], s[4:5], 0x0
	v_mul_lo_u16 v1, 0xf3, v1
	v_sub_nc_u16 v16, v0, v1
	v_and_b32_e32 v48, 0xffff, v16
	v_lshlrev_b32_e32 v44, 2, v48
	s_waitcnt lgkmcnt(0)
	s_load_dwordx4 s[12:15], s[0:1], 0x0
	s_clause 0x1
	global_load_dword v49, v44, s[6:7]
	global_load_dword v47, v44, s[6:7] offset:972
	v_add_co_u32 v11, s0, s6, v44
	v_add_co_ci_u32_e64 v12, null, s7, 0, s0
	v_add_co_u32 v4, vcc_lo, 0x800, v11
	v_add_co_ci_u32_e32 v5, vcc_lo, 0, v12, vcc_lo
	v_add_co_u32 v9, vcc_lo, 0x1000, v11
	v_add_co_ci_u32_e32 v10, vcc_lo, 0, v12, vcc_lo
	s_clause 0x1
	global_load_dword v51, v[4:5], off offset:544
	global_load_dword v50, v[9:10], off offset:1088
	s_waitcnt lgkmcnt(0)
	v_mad_u64_u32 v[0:1], null, s14, v13, 0
	v_mad_u64_u32 v[2:3], null, s12, v48, 0
	s_mul_i32 s1, s13, 0x288
	s_mul_hi_u32 s7, s12, 0x288
	s_mul_i32 s0, s12, 0x288
	s_mul_hi_u32 s9, s12, 0xfffffbe3
	s_add_i32 s1, s7, s1
	s_mul_i32 s8, s13, 0xfffffbe3
	v_mad_u64_u32 v[6:7], null, s15, v13, v[1:2]
	v_mad_u64_u32 v[7:8], null, s13, v48, v[3:4]
	s_mul_i32 s6, s12, 0xfffffbe3
	s_sub_i32 s7, s9, s12
	s_lshl_b64 s[12:13], s[0:1], 2
	s_add_i32 s7, s7, s8
	v_mov_b32_e32 v1, v6
	s_lshl_b64 s[0:1], s[6:7], 2
	v_mov_b32_e32 v3, v7
	s_load_dwordx2 s[6:7], s[4:5], 0x38
	v_lshlrev_b64 v[0:1], 2, v[0:1]
	v_lshlrev_b64 v[2:3], 2, v[2:3]
	v_add_co_u32 v0, vcc_lo, s10, v0
	v_add_co_ci_u32_e32 v1, vcc_lo, s11, v1, vcc_lo
	v_add_co_u32 v0, vcc_lo, v0, v2
	v_add_co_ci_u32_e32 v1, vcc_lo, v1, v3, vcc_lo
	;; [unrolled: 2-line block ×3, first 2 shown]
	s_clause 0x1
	global_load_dword v6, v[0:1], off
	global_load_dword v17, v[2:3], off
	v_add_co_u32 v0, vcc_lo, v2, s12
	v_add_co_ci_u32_e32 v1, vcc_lo, s13, v3, vcc_lo
	v_add_co_u32 v2, vcc_lo, v0, s0
	v_add_co_ci_u32_e32 v3, vcc_lo, s1, v1, vcc_lo
	global_load_dword v18, v[0:1], off
	v_add_co_u32 v14, vcc_lo, v2, s12
	global_load_dword v2, v[2:3], off
	v_add_co_ci_u32_e32 v15, vcc_lo, s13, v3, vcc_lo
	v_add_co_u32 v0, vcc_lo, v14, s12
	v_add_co_ci_u32_e32 v1, vcc_lo, s13, v15, vcc_lo
	v_add_co_u32 v7, vcc_lo, 0x1800, v11
	v_add_co_ci_u32_e32 v8, vcc_lo, 0, v12, vcc_lo
	global_load_dword v3, v[14:15], off
	global_load_dword v14, v[0:1], off
	s_clause 0x1
	global_load_dword v46, v[4:5], off offset:1516
	global_load_dword v45, v[7:8], off offset:12
	s_load_dwordx4 s[8:11], s[2:3], 0x0
	v_cmp_gt_u16_e32 vcc_lo, 0xa2, v16
	s_waitcnt vmcnt(7)
	v_lshrrev_b32_e32 v4, 16, v6
	v_mul_f16_sdwa v5, v49, v6 dst_sel:DWORD dst_unused:UNUSED_PAD src0_sel:WORD_1 src1_sel:DWORD
	s_waitcnt vmcnt(6)
	v_lshrrev_b32_e32 v19, 16, v17
	v_mul_f16_sdwa v15, v49, v4 dst_sel:DWORD dst_unused:UNUSED_PAD src0_sel:WORD_1 src1_sel:DWORD
	v_fma_f16 v4, v49, v4, -v5
	v_mul_f16_sdwa v5, v51, v17 dst_sel:DWORD dst_unused:UNUSED_PAD src0_sel:WORD_1 src1_sel:DWORD
	v_fmac_f16_e32 v15, v49, v6
	v_mul_f16_sdwa v6, v51, v19 dst_sel:DWORD dst_unused:UNUSED_PAD src0_sel:WORD_1 src1_sel:DWORD
	v_fma_f16 v5, v51, v19, -v5
	s_waitcnt vmcnt(5)
	v_lshrrev_b32_e32 v20, 16, v18
	v_mul_f16_sdwa v21, v50, v18 dst_sel:DWORD dst_unused:UNUSED_PAD src0_sel:WORD_1 src1_sel:DWORD
	v_pack_b32_f16 v4, v15, v4
	v_fmac_f16_e32 v6, v51, v17
	s_waitcnt vmcnt(4)
	v_lshrrev_b32_e32 v19, 16, v2
	v_mul_f16_sdwa v15, v50, v20 dst_sel:DWORD dst_unused:UNUSED_PAD src0_sel:WORD_1 src1_sel:DWORD
	v_fma_f16 v17, v50, v20, -v21
	v_mul_f16_sdwa v20, v47, v2 dst_sel:DWORD dst_unused:UNUSED_PAD src0_sel:WORD_1 src1_sel:DWORD
	v_pack_b32_f16 v5, v6, v5
	v_mul_f16_sdwa v21, v47, v19 dst_sel:DWORD dst_unused:UNUSED_PAD src0_sel:WORD_1 src1_sel:DWORD
	v_fmac_f16_e32 v15, v50, v18
	s_waitcnt vmcnt(3)
	v_lshrrev_b32_e32 v6, 16, v3
	s_waitcnt vmcnt(2)
	v_lshrrev_b32_e32 v18, 16, v14
	v_fma_f16 v19, v47, v19, -v20
	s_waitcnt vmcnt(1)
	v_mul_f16_sdwa v20, v46, v3 dst_sel:DWORD dst_unused:UNUSED_PAD src0_sel:WORD_1 src1_sel:DWORD
	s_waitcnt vmcnt(0)
	v_mul_f16_sdwa v24, v45, v14 dst_sel:DWORD dst_unused:UNUSED_PAD src0_sel:WORD_1 src1_sel:DWORD
	v_mul_f16_sdwa v22, v46, v6 dst_sel:DWORD dst_unused:UNUSED_PAD src0_sel:WORD_1 src1_sel:DWORD
	;; [unrolled: 1-line block ×3, first 2 shown]
	v_fmac_f16_e32 v21, v47, v2
	v_fma_f16 v2, v46, v6, -v20
	ds_write_b32 v44, v5 offset:2592
	v_fmac_f16_e32 v22, v46, v3
	v_fmac_f16_e32 v23, v45, v14
	v_fma_f16 v3, v45, v18, -v24
	v_pack_b32_f16 v5, v15, v17
	v_pack_b32_f16 v6, v21, v19
	;; [unrolled: 1-line block ×4, first 2 shown]
	ds_write_b32 v44, v5 offset:5184
	ds_write2_b32 v44, v4, v6 offset1:243
	ds_write_b32 v44, v2 offset:3564
	ds_write_b32 v44, v3 offset:6156
	s_and_saveexec_b32 s2, vcc_lo
	s_cbranch_execz .LBB0_3
; %bb.2:
	v_add_co_u32 v0, s0, v0, s0
	v_add_co_ci_u32_e64 v1, s0, s1, v1, s0
	v_add_co_u32 v2, s0, v0, s12
	v_add_co_ci_u32_e64 v3, s0, s13, v1, s0
	;; [unrolled: 2-line block ×3, first 2 shown]
	global_load_dword v0, v[0:1], off
	global_load_dword v1, v[11:12], off offset:1944
	global_load_dword v2, v[2:3], off
	global_load_dword v3, v[4:5], off
	s_clause 0x1
	global_load_dword v4, v[9:10], off offset:440
	global_load_dword v5, v[7:8], off offset:984
	s_waitcnt vmcnt(5)
	v_lshrrev_b32_e32 v6, 16, v0
	s_waitcnt vmcnt(4)
	v_mul_f16_sdwa v14, v1, v0 dst_sel:DWORD dst_unused:UNUSED_PAD src0_sel:WORD_1 src1_sel:DWORD
	s_waitcnt vmcnt(3)
	v_lshrrev_b32_e32 v15, 16, v2
	s_waitcnt vmcnt(2)
	v_lshrrev_b32_e32 v16, 16, v3
	v_mul_f16_sdwa v17, v1, v6 dst_sel:DWORD dst_unused:UNUSED_PAD src0_sel:WORD_1 src1_sel:DWORD
	v_fma_f16 v6, v1, v6, -v14
	s_waitcnt vmcnt(1)
	v_mul_f16_sdwa v14, v4, v2 dst_sel:DWORD dst_unused:UNUSED_PAD src0_sel:WORD_1 src1_sel:DWORD
	v_mul_f16_sdwa v18, v4, v15 dst_sel:DWORD dst_unused:UNUSED_PAD src0_sel:WORD_1 src1_sel:DWORD
	s_waitcnt vmcnt(0)
	v_mul_f16_sdwa v19, v5, v16 dst_sel:DWORD dst_unused:UNUSED_PAD src0_sel:WORD_1 src1_sel:DWORD
	v_mul_f16_sdwa v20, v5, v3 dst_sel:DWORD dst_unused:UNUSED_PAD src0_sel:WORD_1 src1_sel:DWORD
	v_fmac_f16_e32 v17, v1, v0
	v_fma_f16 v0, v4, v15, -v14
	v_fmac_f16_e32 v18, v4, v2
	v_fmac_f16_e32 v19, v5, v3
	v_fma_f16 v1, v5, v16, -v20
	v_pack_b32_f16 v2, v17, v6
	v_pack_b32_f16 v0, v18, v0
	;; [unrolled: 1-line block ×3, first 2 shown]
	ds_write_b32 v44, v2 offset:1944
	ds_write_b32 v44, v0 offset:4536
	;; [unrolled: 1-line block ×3, first 2 shown]
.LBB0_3:
	s_or_b32 exec_lo, exec_lo, s2
	v_add_nc_u32_e32 v0, 0xa00, v44
	v_add_nc_u32_e32 v1, 0x1440, v44
	s_waitcnt lgkmcnt(0)
	s_barrier
	buffer_gl0_inv
	ds_read2_b32 v[2:3], v44 offset1:243
	ds_read2_b32 v[4:5], v0 offset0:8 offset1:251
	ds_read2_b32 v[0:1], v1 offset1:243
                                        ; implicit-def: $vgpr6
                                        ; implicit-def: $vgpr15
                                        ; implicit-def: $vgpr14
	s_and_saveexec_b32 s0, vcc_lo
	s_cbranch_execz .LBB0_5
; %bb.4:
	ds_read_b32 v14, v44 offset:1944
	ds_read_b32 v15, v44 offset:4536
	;; [unrolled: 1-line block ×3, first 2 shown]
.LBB0_5:
	s_or_b32 exec_lo, exec_lo, s0
	s_waitcnt lgkmcnt(0)
	v_pk_add_f16 v16, v6, v15
	v_pk_add_f16 v17, v15, v6 neg_lo:[0,1] neg_hi:[0,1]
	v_pk_add_f16 v15, v15, v14
	v_add_co_u32 v34, s0, 0xf3, v48
	s_load_dwordx2 s[2:3], s[4:5], 0x8
	v_pk_fma_f16 v14, v16, 0.5, v14 op_sel_hi:[1,0,1] neg_lo:[1,0,0] neg_hi:[1,0,0]
	v_pk_add_f16 v20, v6, v15
	v_pk_add_f16 v6, v4, v0
	v_pk_mul_f16 v16, 0x3aee, v17 op_sel_hi:[0,1]
	v_pk_add_f16 v17, v2, v4
	v_pk_add_f16 v4, v4, v0 neg_lo:[0,1] neg_hi:[0,1]
	v_add_co_ci_u32_e64 v18, null, 0, 0, s0
	v_pk_add_f16 v18, v3, v5
	v_pk_fma_f16 v2, v6, 0.5, v2 op_sel_hi:[1,0,1] neg_lo:[1,0,0] neg_hi:[1,0,0]
	v_pk_add_f16 v6, v5, v1
	v_pk_add_f16 v5, v5, v1 neg_lo:[0,1] neg_hi:[0,1]
	v_pk_mul_f16 v4, 0x3aee, v4 op_sel_hi:[0,1]
	v_pk_add_f16 v21, v14, v16 op_sel:[0,1] op_sel_hi:[1,0]
	v_pk_add_f16 v23, v14, v16 op_sel:[0,1] op_sel_hi:[1,0] neg_lo:[0,1] neg_hi:[0,1]
	v_mul_lo_u16 v14, v48, 3
	v_mov_b32_e32 v15, 2
	v_pk_fma_f16 v3, v6, 0.5, v3 op_sel_hi:[1,0,1] neg_lo:[1,0,0] neg_hi:[1,0,0]
	v_pk_mul_f16 v5, 0x3aee, v5 op_sel_hi:[0,1]
	v_add_co_u32 v32, s0, 0x1e6, v48
	v_pk_add_f16 v6, v2, v4 op_sel:[0,1] op_sel_hi:[1,0]
	v_pk_add_f16 v2, v2, v4 op_sel:[0,1] op_sel_hi:[1,0] neg_lo:[0,1] neg_hi:[0,1]
	v_mul_u32_u24_e32 v4, 3, v34
	v_lshlrev_b32_sdwa v52, v15, v14 dst_sel:DWORD dst_unused:UNUSED_PAD src0_sel:DWORD src1_sel:WORD_0
	v_pk_add_f16 v14, v3, v5 op_sel:[0,1] op_sel_hi:[1,0]
	v_pk_add_f16 v3, v3, v5 op_sel:[0,1] op_sel_hi:[1,0] neg_lo:[0,1] neg_hi:[0,1]
	v_add_co_ci_u32_e64 v33, null, 0, 0, s0
	v_lshrrev_b32_e32 v22, 16, v21
	v_pk_add_f16 v0, v17, v0
	v_bfi_b32 v5, 0xffff, v6, v2
	v_lshlrev_b32_e32 v55, 2, v4
	v_mul_u32_u24_e32 v54, 3, v32
	v_bfi_b32 v2, 0xffff, v2, v6
	v_pk_add_f16 v1, v18, v1
	v_bfi_b32 v4, 0xffff, v14, v3
	v_bfi_b32 v3, 0xffff, v3, v14
	s_waitcnt lgkmcnt(0)
	s_barrier
	buffer_gl0_inv
	ds_write2_b32 v52, v0, v5 offset1:1
	ds_write_b32 v52, v2 offset:8
	ds_write2_b32 v55, v1, v4 offset1:1
	ds_write_b32 v55, v3 offset:8
	s_and_saveexec_b32 s0, vcc_lo
	s_cbranch_execz .LBB0_7
; %bb.6:
	v_lshlrev_b32_e32 v0, 2, v54
	v_bfi_b32 v1, 0xffff, v21, v23
	v_perm_b32 v2, v22, v23, 0x5040100
	ds_write_b32 v0, v20
	ds_write2_b32 v0, v1, v2 offset0:1 offset1:2
.LBB0_7:
	s_or_b32 exec_lo, exec_lo, s0
	v_add_nc_u32_e32 v2, 0xa00, v44
	v_add_nc_u32_e32 v3, 0x1440, v44
	s_waitcnt lgkmcnt(0)
	s_barrier
	buffer_gl0_inv
	ds_read2_b32 v[0:1], v44 offset1:243
	ds_read2_b32 v[4:5], v2 offset0:8 offset1:251
	ds_read2_b32 v[2:3], v3 offset1:243
	s_and_saveexec_b32 s0, vcc_lo
	s_cbranch_execz .LBB0_9
; %bb.8:
	ds_read_b32 v6, v44 offset:7128
	ds_read_b32 v21, v44 offset:4536
	;; [unrolled: 1-line block ×3, first 2 shown]
	s_waitcnt lgkmcnt(2)
	v_lshrrev_b32_e32 v22, 16, v6
	s_waitcnt lgkmcnt(1)
	v_bfi_b32 v23, 0xffff, v6, v21
.LBB0_9:
	s_or_b32 exec_lo, exec_lo, s0
	v_and_b32_e32 v6, 0xff, v48
	v_mov_b32_e32 v14, 0xaaab
	v_mov_b32_e32 v24, 2
	;; [unrolled: 1-line block ×3, first 2 shown]
	s_waitcnt lgkmcnt(1)
	v_lshrrev_b32_e32 v35, 16, v4
	v_mul_lo_u16 v15, 0xab, v6
	v_mul_u32_u24_sdwa v16, v34, v14 dst_sel:DWORD dst_unused:UNUSED_PAD src0_sel:WORD_0 src1_sel:DWORD
	v_mul_u32_u24_sdwa v14, v32, v14 dst_sel:DWORD dst_unused:UNUSED_PAD src0_sel:WORD_0 src1_sel:DWORD
	s_waitcnt lgkmcnt(0)
	v_lshrrev_b32_e32 v37, 16, v2
	v_lshrrev_b32_e32 v39, 16, v5
	v_lshrrev_b16 v25, 9, v15
	v_lshrrev_b32_e32 v26, 17, v16
	v_lshrrev_b32_e32 v27, 17, v14
	;; [unrolled: 1-line block ×4, first 2 shown]
	v_mul_lo_u16 v15, v25, 3
	v_mul_lo_u16 v14, v26, 3
	;; [unrolled: 1-line block ×3, first 2 shown]
	v_mul_u32_u24_sdwa v25, v25, v36 dst_sel:DWORD dst_unused:UNUSED_PAD src0_sel:WORD_0 src1_sel:DWORD
	v_lshrrev_b32_e32 v36, 16, v23
	v_sub_nc_u16 v15, v48, v15
	v_sub_nc_u16 v28, v34, v14
	;; [unrolled: 1-line block ×3, first 2 shown]
	v_lshrrev_b32_e32 v38, 16, v1
	v_and_b32_e32 v29, 0xff, v15
	v_lshlrev_b16 v14, 1, v28
	v_lshlrev_b16 v16, 1, v30
	v_mad_u16 v28, v26, 9, v28
	v_mad_u16 v53, v27, 9, v30
	v_lshlrev_b32_e32 v15, 3, v29
	v_lshlrev_b32_sdwa v14, v24, v14 dst_sel:DWORD dst_unused:UNUSED_PAD src0_sel:DWORD src1_sel:WORD_0
	v_add_lshl_u32 v57, v25, v29, 2
	v_lshlrev_b32_sdwa v56, v24, v28 dst_sel:DWORD dst_unused:UNUSED_PAD src0_sel:DWORD src1_sel:WORD_0
	v_lshrrev_b32_e32 v26, 16, v20
	global_load_dwordx2 v[18:19], v15, s[2:3]
	v_lshlrev_b32_sdwa v15, v24, v16 dst_sel:DWORD dst_unused:UNUSED_PAD src0_sel:DWORD src1_sel:WORD_0
	s_clause 0x1
	global_load_dwordx2 v[16:17], v14, s[2:3]
	global_load_dwordx2 v[14:15], v15, s[2:3]
	s_waitcnt vmcnt(0)
	s_barrier
	buffer_gl0_inv
	v_mul_f16_sdwa v25, v35, v18 dst_sel:DWORD dst_unused:UNUSED_PAD src0_sel:DWORD src1_sel:WORD_1
	v_mul_f16_sdwa v27, v4, v18 dst_sel:DWORD dst_unused:UNUSED_PAD src0_sel:DWORD src1_sel:WORD_1
	;; [unrolled: 1-line block ×12, first 2 shown]
	v_fma_f16 v4, v4, v18, -v25
	v_fmac_f16_e32 v27, v35, v18
	v_fma_f16 v2, v2, v19, -v28
	v_fmac_f16_e32 v29, v37, v19
	;; [unrolled: 2-line block ×6, first 2 shown]
	v_add_f16_e32 v25, v4, v2
	v_sub_f16_e32 v28, v27, v29
	v_add_f16_e32 v30, v31, v27
	v_add_f16_e32 v27, v27, v29
	;; [unrolled: 1-line block ×5, first 2 shown]
	v_sub_f16_e32 v4, v4, v2
	v_add_f16_e32 v35, v1, v5
	v_sub_f16_e32 v37, v41, v43
	v_add_f16_e32 v39, v38, v41
	v_add_f16_e32 v41, v20, v21
	;; [unrolled: 1-line block ×3, first 2 shown]
	v_sub_f16_e32 v58, v59, v61
	v_add_f16_e32 v60, v26, v59
	v_add_f16_e32 v59, v59, v61
	v_fma_f16 v0, -0.5, v25, v0
	v_fmac_f16_e32 v31, -0.5, v27
	v_sub_f16_e32 v5, v5, v3
	v_fmac_f16_e32 v1, -0.5, v36
	v_fmac_f16_e32 v38, -0.5, v40
	v_sub_f16_e32 v21, v21, v23
	v_add_f16_e32 v2, v22, v2
	v_add_f16_e32 v22, v30, v29
	;; [unrolled: 1-line block ×4, first 2 shown]
	v_fma_f16 v27, -0.5, v42, v20
	v_fmac_f16_e32 v26, -0.5, v59
	v_fmamk_f16 v20, v28, 0x3aee, v0
	v_fmamk_f16 v23, v4, 0xbaee, v31
	v_fmac_f16_e32 v0, 0xbaee, v28
	v_fmac_f16_e32 v31, 0x3aee, v4
	v_add_f16_e32 v25, v39, v43
	v_fmamk_f16 v4, v37, 0x3aee, v1
	v_fmamk_f16 v30, v5, 0xbaee, v38
	v_fmac_f16_e32 v1, 0xbaee, v37
	v_fmac_f16_e32 v38, 0x3aee, v5
	v_add_f16_e32 v36, v60, v61
	v_fmamk_f16 v28, v58, 0x3aee, v27
	v_fmac_f16_e32 v27, 0xbaee, v58
	v_fmamk_f16 v29, v21, 0xbaee, v26
	v_pack_b32_f16 v2, v2, v22
	v_pack_b32_f16 v5, v20, v23
	v_fmac_f16_e32 v26, 0x3aee, v21
	v_pack_b32_f16 v0, v0, v31
	v_pack_b32_f16 v3, v3, v25
	;; [unrolled: 1-line block ×4, first 2 shown]
	ds_write2_b32 v57, v2, v5 offset1:3
	ds_write_b32 v57, v0 offset:24
	ds_write2_b32 v56, v3, v4 offset1:3
	ds_write_b32 v56, v1 offset:24
	s_and_saveexec_b32 s0, vcc_lo
	s_cbranch_execz .LBB0_11
; %bb.10:
	v_lshlrev_b32_sdwa v0, v24, v53 dst_sel:DWORD dst_unused:UNUSED_PAD src0_sel:DWORD src1_sel:WORD_0
	v_perm_b32 v1, v36, v35, 0x5040100
	v_perm_b32 v2, v29, v28, 0x5040100
	;; [unrolled: 1-line block ×3, first 2 shown]
	ds_write2_b32 v0, v1, v2 offset1:3
	ds_write_b32 v0, v3 offset:24
.LBB0_11:
	s_or_b32 exec_lo, exec_lo, s0
	v_add_nc_u32_e32 v2, 0xa00, v44
	v_add_nc_u32_e32 v3, 0x1440, v44
	s_waitcnt lgkmcnt(0)
	s_barrier
	buffer_gl0_inv
	ds_read2_b32 v[0:1], v44 offset1:243
	ds_read2_b32 v[4:5], v2 offset0:8 offset1:251
	ds_read2_b32 v[2:3], v3 offset1:243
	s_and_saveexec_b32 s0, vcc_lo
	s_cbranch_execz .LBB0_13
; %bb.12:
	ds_read_b32 v35, v44 offset:1944
	ds_read_b32 v28, v44 offset:4536
	;; [unrolled: 1-line block ×3, first 2 shown]
	s_waitcnt lgkmcnt(2)
	v_lshrrev_b32_e32 v36, 16, v35
	s_waitcnt lgkmcnt(1)
	v_lshrrev_b32_e32 v29, 16, v28
	s_waitcnt lgkmcnt(0)
	v_lshrrev_b32_e32 v26, 16, v27
.LBB0_13:
	s_or_b32 exec_lo, exec_lo, s0
	v_mov_b32_e32 v20, 0xe38f
	v_mul_lo_u16 v21, v6, 57
	s_waitcnt lgkmcnt(1)
	v_lshrrev_b32_e32 v43, 16, v4
	s_waitcnt lgkmcnt(0)
	v_lshrrev_b32_e32 v61, 16, v2
	v_lshrrev_b32_e32 v63, 16, v3
	v_mul_u32_u24_sdwa v22, v34, v20 dst_sel:DWORD dst_unused:UNUSED_PAD src0_sel:WORD_0 src1_sel:DWORD
	v_mul_u32_u24_sdwa v20, v32, v20 dst_sel:DWORD dst_unused:UNUSED_PAD src0_sel:WORD_0 src1_sel:DWORD
	v_lshrrev_b16 v37, 9, v21
	v_lshrrev_b32_e32 v62, 16, v1
	v_lshrrev_b32_e32 v38, 19, v22
	;; [unrolled: 1-line block ×3, first 2 shown]
	v_mul_lo_u16 v21, v37, 9
	v_mul_lo_u16 v20, v38, 9
	;; [unrolled: 1-line block ×3, first 2 shown]
	v_sub_nc_u16 v21, v48, v21
	v_sub_nc_u16 v40, v34, v20
	;; [unrolled: 1-line block ×3, first 2 shown]
	v_and_b32_e32 v41, 0xff, v21
	v_lshlrev_b16 v20, 3, v40
	v_lshlrev_b16 v22, 3, v42
	v_lshlrev_b32_e32 v21, 3, v41
	v_mad_u16 v38, v38, 27, v40
	v_lshrrev_b32_e32 v40, 16, v5
	v_and_b32_e32 v20, 0xffff, v20
	v_and_b32_e32 v22, 0xffff, v22
	global_load_dwordx2 v[24:25], v21, s[2:3] offset:24
	v_mad_u16 v58, v39, 27, v42
	v_add_co_u32 v20, s0, s2, v20
	v_add_co_ci_u32_e64 v21, null, s3, 0, s0
	v_add_co_u32 v30, s0, s2, v22
	v_add_co_ci_u32_e64 v31, null, s3, 0, s0
	s_clause 0x1
	global_load_dwordx2 v[22:23], v[20:21], off offset:24
	global_load_dwordx2 v[20:21], v[30:31], off offset:24
	v_mov_b32_e32 v30, 27
	v_lshrrev_b32_e32 v31, 16, v0
	s_waitcnt vmcnt(0)
	s_barrier
	buffer_gl0_inv
	v_mul_u32_u24_sdwa v37, v37, v30 dst_sel:DWORD dst_unused:UNUSED_PAD src0_sel:WORD_0 src1_sel:DWORD
	v_mov_b32_e32 v30, 2
	v_add_lshl_u32 v59, v37, v41, 2
	v_lshlrev_b32_sdwa v60, v30, v38 dst_sel:DWORD dst_unused:UNUSED_PAD src0_sel:DWORD src1_sel:WORD_0
	v_mul_f16_sdwa v37, v43, v24 dst_sel:DWORD dst_unused:UNUSED_PAD src0_sel:DWORD src1_sel:WORD_1
	v_mul_f16_sdwa v38, v4, v24 dst_sel:DWORD dst_unused:UNUSED_PAD src0_sel:DWORD src1_sel:WORD_1
	;; [unrolled: 1-line block ×4, first 2 shown]
	v_fma_f16 v4, v4, v24, -v37
	v_fmac_f16_e32 v38, v43, v24
	v_fma_f16 v2, v2, v25, -v39
	v_fmac_f16_e32 v41, v61, v25
	v_add_f16_e32 v67, v0, v4
	v_add_f16_e32 v70, v31, v38
	v_mul_f16_sdwa v37, v40, v22 dst_sel:DWORD dst_unused:UNUSED_PAD src0_sel:DWORD src1_sel:WORD_1
	v_mul_f16_sdwa v39, v5, v22 dst_sel:DWORD dst_unused:UNUSED_PAD src0_sel:DWORD src1_sel:WORD_1
	v_mul_f16_sdwa v42, v63, v23 dst_sel:DWORD dst_unused:UNUSED_PAD src0_sel:DWORD src1_sel:WORD_1
	v_mul_f16_sdwa v43, v3, v23 dst_sel:DWORD dst_unused:UNUSED_PAD src0_sel:DWORD src1_sel:WORD_1
	v_mul_f16_sdwa v61, v29, v20 dst_sel:DWORD dst_unused:UNUSED_PAD src0_sel:DWORD src1_sel:WORD_1
	v_mul_f16_sdwa v64, v28, v20 dst_sel:DWORD dst_unused:UNUSED_PAD src0_sel:DWORD src1_sel:WORD_1
	v_mul_f16_sdwa v65, v26, v21 dst_sel:DWORD dst_unused:UNUSED_PAD src0_sel:DWORD src1_sel:WORD_1
	v_mul_f16_sdwa v66, v27, v21 dst_sel:DWORD dst_unused:UNUSED_PAD src0_sel:DWORD src1_sel:WORD_1
	v_add_f16_e32 v68, v4, v2
	v_sub_f16_e32 v69, v38, v41
	v_add_f16_e32 v38, v38, v41
	v_fma_f16 v5, v5, v22, -v37
	v_fmac_f16_e32 v39, v40, v22
	v_fma_f16 v3, v3, v23, -v42
	v_fmac_f16_e32 v43, v63, v23
	;; [unrolled: 2-line block ×4, first 2 shown]
	v_sub_f16_e32 v4, v4, v2
	v_fma_f16 v0, -0.5, v68, v0
	v_fmac_f16_e32 v31, -0.5, v38
	v_add_f16_e32 v26, v70, v41
	v_add_f16_e32 v37, v5, v3
	v_sub_f16_e32 v41, v39, v43
	v_add_f16_e32 v38, v62, v39
	v_add_f16_e32 v39, v39, v43
	;; [unrolled: 1-line block ×3, first 2 shown]
	v_sub_f16_e32 v63, v64, v66
	v_add_f16_e32 v65, v36, v64
	v_add_f16_e32 v64, v64, v66
	;; [unrolled: 1-line block ×3, first 2 shown]
	v_fmamk_f16 v29, v69, 0x3aee, v0
	v_fmamk_f16 v40, v4, 0xbaee, v31
	v_fmac_f16_e32 v31, 0x3aee, v4
	v_add_f16_e32 v4, v1, v5
	v_sub_f16_e32 v5, v5, v3
	v_add_f16_e32 v42, v35, v28
	v_fmac_f16_e32 v1, -0.5, v37
	v_fmac_f16_e32 v62, -0.5, v39
	v_sub_f16_e32 v28, v28, v27
	v_fmac_f16_e32 v35, -0.5, v61
	v_fmac_f16_e32 v36, -0.5, v64
	v_fmac_f16_e32 v0, 0xbaee, v69
	v_pack_b32_f16 v2, v2, v26
	v_add_f16_e32 v3, v4, v3
	v_add_f16_e32 v4, v38, v43
	v_add_f16_e32 v37, v42, v27
	v_pack_b32_f16 v26, v29, v40
	v_fmamk_f16 v27, v41, 0x3aee, v1
	v_fmamk_f16 v29, v5, 0xbaee, v62
	v_fmac_f16_e32 v1, 0xbaee, v41
	v_fmac_f16_e32 v62, 0x3aee, v5
	v_add_f16_e32 v38, v65, v66
	v_fmamk_f16 v39, v63, 0x3aee, v35
	v_fmac_f16_e32 v35, 0xbaee, v63
	v_fmamk_f16 v40, v28, 0xbaee, v36
	v_fmac_f16_e32 v36, 0x3aee, v28
	v_pack_b32_f16 v0, v0, v31
	v_pack_b32_f16 v3, v3, v4
	;; [unrolled: 1-line block ×4, first 2 shown]
	ds_write2_b32 v59, v2, v26 offset1:9
	ds_write_b32 v59, v0 offset:72
	ds_write2_b32 v60, v3, v4 offset1:9
	ds_write_b32 v60, v1 offset:72
	s_and_saveexec_b32 s0, vcc_lo
	s_cbranch_execz .LBB0_15
; %bb.14:
	v_lshlrev_b32_sdwa v0, v30, v58 dst_sel:DWORD dst_unused:UNUSED_PAD src0_sel:DWORD src1_sel:WORD_0
	v_perm_b32 v1, v38, v37, 0x5040100
	v_perm_b32 v2, v40, v39, 0x5040100
	;; [unrolled: 1-line block ×3, first 2 shown]
	ds_write2_b32 v0, v1, v2 offset1:9
	ds_write_b32 v0, v3 offset:72
.LBB0_15:
	s_or_b32 exec_lo, exec_lo, s0
	v_add_nc_u32_e32 v2, 0xa00, v44
	v_add_nc_u32_e32 v3, 0x1440, v44
	s_waitcnt lgkmcnt(0)
	s_barrier
	buffer_gl0_inv
	ds_read2_b32 v[0:1], v44 offset1:243
	ds_read2_b32 v[4:5], v2 offset0:8 offset1:251
	ds_read2_b32 v[2:3], v3 offset1:243
	s_and_saveexec_b32 s0, vcc_lo
	s_cbranch_execz .LBB0_17
; %bb.16:
	ds_read_b32 v37, v44 offset:1944
	ds_read_b32 v39, v44 offset:4536
	;; [unrolled: 1-line block ×3, first 2 shown]
	s_waitcnt lgkmcnt(2)
	v_lshrrev_b32_e32 v38, 16, v37
	s_waitcnt lgkmcnt(1)
	v_lshrrev_b32_e32 v40, 16, v39
	s_waitcnt lgkmcnt(0)
	v_lshrrev_b32_e32 v36, 16, v35
.LBB0_17:
	s_or_b32 exec_lo, exec_lo, s0
	v_mov_b32_e32 v26, 0x2f69
	v_mul_lo_u16 v27, v6, 19
	s_waitcnt lgkmcnt(1)
	v_lshrrev_b32_e32 v67, 16, v4
	s_waitcnt lgkmcnt(0)
	v_lshrrev_b32_e32 v68, 16, v2
	v_lshrrev_b32_e32 v70, 16, v5
	v_mul_u32_u24_sdwa v28, v34, v26 dst_sel:DWORD dst_unused:UNUSED_PAD src0_sel:WORD_0 src1_sel:DWORD
	v_lshrrev_b16 v43, 9, v27
	v_mul_u32_u24_sdwa v26, v32, v26 dst_sel:DWORD dst_unused:UNUSED_PAD src0_sel:WORD_0 src1_sel:DWORD
	v_lshrrev_b32_e32 v71, 16, v3
	v_lshrrev_b32_e32 v69, 16, v1
	;; [unrolled: 1-line block ×3, first 2 shown]
	v_mul_lo_u16 v28, v43, 27
	v_lshrrev_b32_e32 v26, 16, v26
	v_sub_nc_u16 v29, v34, v27
	v_sub_nc_u16 v28, v48, v28
	;; [unrolled: 1-line block ×3, first 2 shown]
	v_lshrrev_b16 v29, 1, v29
	v_and_b32_e32 v61, 0xff, v28
	v_lshrrev_b16 v28, 1, v30
	v_add_nc_u16 v27, v29, v27
	v_lshlrev_b32_e32 v29, 3, v61
	v_add_nc_u16 v26, v28, v26
	v_lshrrev_b16 v63, 4, v27
	global_load_dwordx2 v[30:31], v29, s[2:3] offset:96
	v_lshrrev_b16 v64, 4, v26
	v_mul_lo_u16 v26, v63, 27
	v_mul_lo_u16 v27, v64, 27
	v_sub_nc_u16 v65, v34, v26
	v_sub_nc_u16 v66, v32, v27
	v_lshlrev_b16 v26, 3, v65
	v_lshlrev_b16 v27, 3, v66
	v_and_b32_e32 v26, 0xffff, v26
	v_and_b32_e32 v28, 0xffff, v27
	v_add_co_u32 v26, s0, s2, v26
	v_add_co_ci_u32_e64 v27, null, s3, 0, s0
	v_add_co_u32 v41, s0, s2, v28
	v_add_co_ci_u32_e64 v42, null, s3, 0, s0
	s_clause 0x1
	global_load_dwordx2 v[28:29], v[26:27], off offset:96
	global_load_dwordx2 v[26:27], v[41:42], off offset:96
	v_mov_b32_e32 v41, 0x51
	v_lshrrev_b32_e32 v42, 16, v0
	s_waitcnt vmcnt(0)
	s_barrier
	buffer_gl0_inv
	v_mul_u32_u24_sdwa v43, v43, v41 dst_sel:DWORD dst_unused:UNUSED_PAD src0_sel:WORD_0 src1_sel:DWORD
	v_mov_b32_e32 v41, 2
	v_add_lshl_u32 v62, v43, v61, 2
	v_mad_u16 v43, 0x51, v63, v65
	v_mad_u16 v61, 0x51, v64, v66
	v_mul_f16_sdwa v63, v67, v30 dst_sel:DWORD dst_unused:UNUSED_PAD src0_sel:DWORD src1_sel:WORD_1
	v_mul_f16_sdwa v65, v68, v31 dst_sel:DWORD dst_unused:UNUSED_PAD src0_sel:DWORD src1_sel:WORD_1
	v_mul_f16_sdwa v72, v4, v30 dst_sel:DWORD dst_unused:UNUSED_PAD src0_sel:DWORD src1_sel:WORD_1
	v_mul_f16_sdwa v73, v2, v31 dst_sel:DWORD dst_unused:UNUSED_PAD src0_sel:DWORD src1_sel:WORD_1
	v_fma_f16 v4, v4, v30, -v63
	v_fma_f16 v2, v2, v31, -v65
	v_fmac_f16_e32 v72, v67, v30
	v_fmac_f16_e32 v73, v68, v31
	v_lshlrev_b32_sdwa v63, v41, v43 dst_sel:DWORD dst_unused:UNUSED_PAD src0_sel:DWORD src1_sel:WORD_0
	v_add_f16_e32 v64, v0, v4
	v_add_f16_e32 v43, v4, v2
	;; [unrolled: 1-line block ×4, first 2 shown]
	v_sub_f16_e32 v66, v72, v73
	v_sub_f16_e32 v4, v4, v2
	v_fma_f16 v0, -0.5, v43, v0
	v_add_f16_e32 v2, v64, v2
	v_fmac_f16_e32 v42, -0.5, v65
	v_add_f16_e32 v43, v67, v73
	v_fmamk_f16 v64, v66, 0x3aee, v0
	v_fmac_f16_e32 v0, 0xbaee, v66
	v_fmamk_f16 v65, v4, 0xbaee, v42
	v_fmac_f16_e32 v42, 0x3aee, v4
	v_pack_b32_f16 v43, v2, v43
	v_pack_b32_f16 v64, v64, v65
	v_pack_b32_f16 v42, v0, v42
	v_mul_f16_sdwa v4, v70, v28 dst_sel:DWORD dst_unused:UNUSED_PAD src0_sel:DWORD src1_sel:WORD_1
	v_mul_f16_sdwa v65, v5, v28 dst_sel:DWORD dst_unused:UNUSED_PAD src0_sel:DWORD src1_sel:WORD_1
	;; [unrolled: 1-line block ×8, first 2 shown]
	v_fma_f16 v5, v5, v28, -v4
	v_fmac_f16_e32 v65, v70, v28
	v_fma_f16 v66, v3, v29, -v66
	v_fmac_f16_e32 v67, v71, v29
	;; [unrolled: 2-line block ×4, first 2 shown]
	v_add_f16_e32 v39, v5, v66
	v_sub_f16_e32 v40, v65, v67
	v_add_f16_e32 v68, v69, v65
	v_add_f16_e32 v65, v65, v67
	;; [unrolled: 1-line block ×3, first 2 shown]
	v_sub_f16_e32 v70, v5, v66
	v_add_f16_e32 v71, v4, v3
	v_add_f16_e32 v72, v2, v0
	v_fmac_f16_e32 v1, -0.5, v39
	v_fmac_f16_e32 v69, -0.5, v65
	v_sub_f16_e32 v5, v2, v0
	v_sub_f16_e32 v36, v4, v3
	v_add_f16_e32 v66, v35, v66
	v_add_f16_e32 v65, v68, v67
	v_fma_f16 v35, -0.5, v71, v37
	v_fmamk_f16 v68, v40, 0x3aee, v1
	v_fmac_f16_e32 v1, 0xbaee, v40
	v_fmamk_f16 v40, v70, 0xbaee, v69
	v_fma_f16 v39, -0.5, v72, v38
	v_fmac_f16_e32 v69, 0x3aee, v70
	v_fmamk_f16 v67, v5, 0xbaee, v35
	v_pack_b32_f16 v65, v66, v65
	v_pack_b32_f16 v40, v68, v40
	v_fmamk_f16 v68, v36, 0x3aee, v39
	v_pack_b32_f16 v1, v1, v69
	ds_write2_b32 v62, v43, v64 offset1:27
	ds_write_b32 v62, v42 offset:216
	ds_write2_b32 v63, v65, v40 offset1:27
	ds_write_b32 v63, v1 offset:216
	s_and_saveexec_b32 s0, vcc_lo
	s_cbranch_execz .LBB0_19
; %bb.18:
	v_mul_f16_e32 v1, 0x3aee, v36
	v_add_f16_e32 v2, v38, v2
	v_add_f16_e32 v4, v37, v4
	v_mul_f16_e32 v5, 0x3aee, v5
	v_sub_f16_e32 v1, v39, v1
	v_add_f16_e32 v0, v2, v0
	v_add_f16_e32 v2, v4, v3
	;; [unrolled: 1-line block ×3, first 2 shown]
	v_lshlrev_b32_sdwa v4, v41, v61 dst_sel:DWORD dst_unused:UNUSED_PAD src0_sel:DWORD src1_sel:WORD_0
	v_pack_b32_f16 v0, v2, v0
	v_pack_b32_f16 v1, v3, v1
	v_perm_b32 v2, v68, v67, 0x5040100
	ds_write2_b32 v4, v0, v1 offset1:27
	ds_write_b32 v4, v2 offset:216
.LBB0_19:
	s_or_b32 exec_lo, exec_lo, s0
	v_mul_lo_u16 v0, 0xcb, v6
	s_waitcnt lgkmcnt(0)
	s_barrier
	buffer_gl0_inv
	v_add_nc_u32_e32 v37, 0x780, v44
	v_lshrrev_b16 v43, 14, v0
	v_add_nc_u32_e32 v39, 0xf00, v44
	v_add_nc_u32_e32 v41, 0x16c0, v44
	v_mov_b32_e32 v65, 0x288
	v_add_nc_u32_e32 v71, 0xa00, v44
	v_mul_lo_u16 v0, 0x51, v43
	v_add_nc_u32_e32 v72, 0x1440, v44
	v_mul_u32_u24_sdwa v43, v43, v65 dst_sel:DWORD dst_unused:UNUSED_PAD src0_sel:WORD_0 src1_sel:DWORD
	v_sub_nc_u16 v0, v48, v0
	v_and_b32_e32 v64, 0xff, v0
	v_mad_u64_u32 v[4:5], null, v64, 28, s[2:3]
	v_add_lshl_u32 v64, v43, v64, 2
	s_clause 0x1
	global_load_dwordx4 v[0:3], v[4:5], off offset:312
	global_load_dwordx3 v[4:6], v[4:5], off offset:328
	ds_read2_b32 v[35:36], v44 offset1:243
	ds_read2_b32 v[37:38], v37 offset0:6 offset1:249
	ds_read2_b32 v[39:40], v39 offset0:12 offset1:255
	;; [unrolled: 1-line block ×3, first 2 shown]
	v_add_nc_u32_e32 v77, 0x600, v64
	v_add_nc_u32_e32 v76, 0x400, v64
	s_waitcnt vmcnt(0) lgkmcnt(0)
	s_barrier
	buffer_gl0_inv
	v_lshrrev_b32_e32 v69, 16, v37
	v_lshrrev_b32_e32 v66, 16, v36
	;; [unrolled: 1-line block ×8, first 2 shown]
	v_mul_f16_sdwa v78, v66, v0 dst_sel:DWORD dst_unused:UNUSED_PAD src0_sel:DWORD src1_sel:WORD_1
	v_mul_f16_sdwa v79, v36, v0 dst_sel:DWORD dst_unused:UNUSED_PAD src0_sel:DWORD src1_sel:WORD_1
	;; [unrolled: 1-line block ×14, first 2 shown]
	v_fma_f16 v36, v36, v0, -v78
	v_fmac_f16_e32 v79, v66, v0
	v_fma_f16 v37, v37, v1, -v80
	v_fmac_f16_e32 v81, v69, v1
	;; [unrolled: 2-line block ×7, first 2 shown]
	v_sub_f16_e32 v39, v35, v39
	v_sub_f16_e32 v43, v65, v85
	;; [unrolled: 1-line block ×8, first 2 shown]
	v_fma_f16 v35, v35, 2.0, -v39
	v_fma_f16 v65, v65, 2.0, -v43
	;; [unrolled: 1-line block ×8, first 2 shown]
	v_sub_f16_e32 v78, v39, v66
	v_add_f16_e32 v41, v43, v41
	v_sub_f16_e32 v79, v40, v70
	v_add_f16_e32 v42, v69, v42
	v_sub_f16_e32 v37, v35, v37
	v_sub_f16_e32 v73, v65, v73
	v_fma_f16 v39, v39, 2.0, -v78
	v_fma_f16 v43, v43, 2.0, -v41
	v_sub_f16_e32 v38, v36, v38
	v_sub_f16_e32 v66, v74, v75
	v_fma_f16 v40, v40, 2.0, -v79
	v_fma_f16 v75, v69, 2.0, -v42
	v_fmamk_f16 v69, v79, 0x39a8, v78
	v_fmamk_f16 v70, v42, 0x39a8, v41
	v_fma_f16 v35, v35, 2.0, -v37
	v_fma_f16 v80, v65, 2.0, -v73
	;; [unrolled: 1-line block ×4, first 2 shown]
	v_fmamk_f16 v81, v40, 0xb9a8, v39
	v_fmamk_f16 v82, v75, 0xb9a8, v43
	v_sub_f16_e32 v65, v37, v66
	v_add_f16_e32 v66, v73, v38
	v_fmac_f16_e32 v69, 0xb9a8, v42
	v_fmac_f16_e32 v70, 0x39a8, v79
	v_sub_f16_e32 v36, v35, v36
	v_sub_f16_e32 v38, v80, v74
	v_fmac_f16_e32 v81, 0xb9a8, v75
	v_fmac_f16_e32 v82, 0x39a8, v40
	v_fma_f16 v37, v37, 2.0, -v65
	v_fma_f16 v40, v73, 2.0, -v66
	;; [unrolled: 1-line block ×8, first 2 shown]
	v_pack_b32_f16 v73, v65, v66
	v_pack_b32_f16 v74, v69, v70
	v_pack_b32_f16 v37, v37, v40
	v_pack_b32_f16 v40, v42, v41
	v_pack_b32_f16 v36, v36, v38
	v_pack_b32_f16 v38, v81, v82
	v_pack_b32_f16 v35, v35, v75
	v_pack_b32_f16 v39, v39, v43
	ds_write2_b32 v77, v73, v74 offset0:102 offset1:183
	ds_write2_b32 v64, v37, v40 offset0:162 offset1:243
	ds_write2_b32 v76, v36, v38 offset0:68 offset1:149
	ds_write2_b32 v64, v35, v39 offset1:81
	s_waitcnt lgkmcnt(0)
	s_barrier
	buffer_gl0_inv
	ds_read2_b32 v[38:39], v44 offset1:243
	ds_read2_b32 v[42:43], v71 offset0:8 offset1:251
	ds_read2_b32 v[40:41], v72 offset1:243
	s_and_saveexec_b32 s0, vcc_lo
	s_cbranch_execz .LBB0_21
; %bb.20:
	ds_read_b32 v65, v44 offset:1944
	ds_read_b32 v69, v44 offset:4536
	;; [unrolled: 1-line block ×3, first 2 shown]
	s_waitcnt lgkmcnt(2)
	v_lshrrev_b32_e32 v66, 16, v65
	s_waitcnt lgkmcnt(1)
	v_lshrrev_b32_e32 v70, 16, v69
	;; [unrolled: 2-line block ×3, first 2 shown]
.LBB0_21:
	s_or_b32 exec_lo, exec_lo, s0
	v_lshlrev_b32_e32 v35, 3, v48
	v_lshlrev_b32_e32 v34, 3, v34
	s_waitcnt lgkmcnt(1)
	v_lshrrev_b32_e32 v75, 16, v43
	s_waitcnt lgkmcnt(0)
	v_lshrrev_b32_e32 v76, 16, v41
	v_add_co_u32 v35, s0, s2, v35
	v_add_co_ci_u32_e64 v36, null, s3, 0, s0
	v_add_co_u32 v37, s0, s2, v34
	v_add_co_ci_u32_e64 v72, null, s3, 0, s0
	v_add_co_u32 v34, s0, 0x800, v35
	v_add_co_ci_u32_e64 v35, s0, 0, v36, s0
	v_add_co_u32 v71, s0, 0x800, v37
	v_add_co_ci_u32_e64 v72, s0, 0, v72, s0
	v_add_co_u32 v73, s0, 0xffffff5e, v48
	v_add_co_ci_u32_e64 v74, null, 0, -1, s0
	s_clause 0x1
	global_load_dwordx2 v[36:37], v[34:35], off offset:532
	global_load_dwordx2 v[34:35], v[71:72], off offset:532
	v_cndmask_b32_e32 v32, v73, v32, vcc_lo
	v_lshrrev_b32_e32 v72, 16, v42
	v_cndmask_b32_e32 v33, v74, v33, vcc_lo
	v_lshrrev_b32_e32 v73, 16, v40
	v_lshrrev_b32_e32 v71, 16, v38
	;; [unrolled: 1-line block ×3, first 2 shown]
	v_lshlrev_b64 v[32:33], 3, v[32:33]
	v_add_co_u32 v32, s0, s2, v32
	v_add_co_ci_u32_e64 v33, s0, s3, v33, s0
	v_add_co_u32 v32, s0, 0x800, v32
	v_add_co_ci_u32_e64 v33, s0, 0, v33, s0
	global_load_dwordx2 v[32:33], v[32:33], off offset:532
	s_waitcnt vmcnt(2)
	v_mul_f16_sdwa v77, v72, v36 dst_sel:DWORD dst_unused:UNUSED_PAD src0_sel:DWORD src1_sel:WORD_1
	v_mul_f16_sdwa v78, v42, v36 dst_sel:DWORD dst_unused:UNUSED_PAD src0_sel:DWORD src1_sel:WORD_1
	;; [unrolled: 1-line block ×4, first 2 shown]
	s_waitcnt vmcnt(1)
	v_mul_f16_sdwa v81, v75, v34 dst_sel:DWORD dst_unused:UNUSED_PAD src0_sel:DWORD src1_sel:WORD_1
	v_mul_f16_sdwa v82, v43, v34 dst_sel:DWORD dst_unused:UNUSED_PAD src0_sel:DWORD src1_sel:WORD_1
	v_mul_f16_sdwa v84, v41, v35 dst_sel:DWORD dst_unused:UNUSED_PAD src0_sel:DWORD src1_sel:WORD_1
	v_fma_f16 v42, v42, v36, -v77
	v_fmac_f16_e32 v78, v72, v36
	v_mul_f16_sdwa v83, v76, v35 dst_sel:DWORD dst_unused:UNUSED_PAD src0_sel:DWORD src1_sel:WORD_1
	v_fma_f16 v40, v40, v37, -v79
	v_fmac_f16_e32 v80, v73, v37
	v_fma_f16 v43, v43, v34, -v81
	v_fmac_f16_e32 v82, v75, v34
	v_fmac_f16_e32 v84, v76, v35
	v_add_f16_e32 v72, v38, v42
	v_add_f16_e32 v76, v71, v78
	v_fma_f16 v41, v41, v35, -v83
	v_add_f16_e32 v73, v42, v40
	v_sub_f16_e32 v75, v78, v80
	v_add_f16_e32 v77, v78, v80
	v_sub_f16_e32 v42, v42, v40
	;; [unrolled: 2-line block ×3, first 2 shown]
	v_add_f16_e32 v83, v74, v82
	v_add_f16_e32 v82, v82, v84
	;; [unrolled: 1-line block ×3, first 2 shown]
	s_waitcnt vmcnt(0)
	v_mul_f16_sdwa v85, v70, v32 dst_sel:DWORD dst_unused:UNUSED_PAD src0_sel:DWORD src1_sel:WORD_1
	v_mul_f16_sdwa v86, v69, v32 dst_sel:DWORD dst_unused:UNUSED_PAD src0_sel:DWORD src1_sel:WORD_1
	v_mul_f16_sdwa v87, v68, v33 dst_sel:DWORD dst_unused:UNUSED_PAD src0_sel:DWORD src1_sel:WORD_1
	v_mul_f16_sdwa v88, v67, v33 dst_sel:DWORD dst_unused:UNUSED_PAD src0_sel:DWORD src1_sel:WORD_1
	v_add_f16_e32 v72, v76, v80
	v_fma_f16 v69, v69, v32, -v85
	v_fmac_f16_e32 v86, v70, v32
	v_fma_f16 v67, v67, v33, -v87
	v_fmac_f16_e32 v88, v68, v33
	v_add_f16_e32 v79, v43, v41
	v_sub_f16_e32 v43, v43, v41
	v_fma_f16 v38, -0.5, v73, v38
	v_fmac_f16_e32 v71, -0.5, v77
	v_add_f16_e32 v41, v78, v41
	v_add_f16_e32 v73, v83, v84
	v_fmac_f16_e32 v74, -0.5, v82
	v_pack_b32_f16 v40, v40, v72
	v_add_f16_e32 v72, v69, v67
	v_add_f16_e32 v77, v86, v88
	v_fmac_f16_e32 v39, -0.5, v79
	v_fmamk_f16 v68, v75, 0x3aee, v38
	v_fmac_f16_e32 v38, 0xbaee, v75
	v_fmamk_f16 v70, v42, 0xbaee, v71
	v_fmamk_f16 v75, v43, 0xbaee, v74
	v_fmac_f16_e32 v74, 0x3aee, v43
	v_pack_b32_f16 v41, v41, v73
	v_add_f16_e32 v43, v65, v69
	v_sub_f16_e32 v73, v86, v88
	v_add_f16_e32 v76, v66, v86
	v_sub_f16_e32 v78, v69, v67
	v_fmac_f16_e32 v65, -0.5, v72
	v_fmac_f16_e32 v66, -0.5, v77
	v_fmac_f16_e32 v71, 0x3aee, v42
	v_fmamk_f16 v42, v81, 0x3aee, v39
	v_fmac_f16_e32 v39, 0xbaee, v81
	v_pack_b32_f16 v79, v68, v70
	v_add_f16_e32 v67, v43, v67
	v_add_f16_e32 v68, v76, v88
	v_fmamk_f16 v70, v73, 0x3aee, v65
	v_fmac_f16_e32 v65, 0xbaee, v73
	v_fmamk_f16 v69, v78, 0xbaee, v66
	v_fmac_f16_e32 v66, 0x3aee, v78
	v_pack_b32_f16 v38, v38, v71
	v_pack_b32_f16 v42, v42, v75
	;; [unrolled: 1-line block ×3, first 2 shown]
	ds_write_b32 v44, v79 offset:2592
	ds_write_b32 v44, v38 offset:5184
	ds_write2_b32 v44, v40, v41 offset1:243
	ds_write_b32 v44, v42 offset:3564
	ds_write_b32 v44, v39 offset:6156
	s_and_saveexec_b32 s0, vcc_lo
	s_cbranch_execz .LBB0_23
; %bb.22:
	v_perm_b32 v38, v68, v67, 0x5040100
	v_perm_b32 v39, v69, v70, 0x5040100
	;; [unrolled: 1-line block ×3, first 2 shown]
	ds_write_b32 v44, v38 offset:1944
	ds_write_b32 v44, v39 offset:4536
	;; [unrolled: 1-line block ×3, first 2 shown]
.LBB0_23:
	s_or_b32 exec_lo, exec_lo, s0
	s_waitcnt lgkmcnt(0)
	s_barrier
	buffer_gl0_inv
	global_load_dword v71, v[7:8], off offset:1632
	v_add_co_u32 v40, s0, 0x2800, v11
	v_add_co_ci_u32_e64 v41, s0, 0, v12, s0
	v_add_co_u32 v42, s0, 0x3000, v11
	v_add_co_ci_u32_e64 v43, s0, 0, v12, s0
	v_add_co_u32 v38, s0, 0x1e60, v11
	v_add_co_ci_u32_e64 v39, s0, 0, v12, s0
	s_clause 0x4
	global_load_dword v76, v[42:43], off offset:1644
	global_load_dword v77, v[40:41], off offset:1100
	;; [unrolled: 1-line block ×5, first 2 shown]
	ds_read2_b32 v[40:41], v44 offset1:243
	s_waitcnt lgkmcnt(0)
	v_lshrrev_b32_e32 v42, 16, v40
	s_waitcnt vmcnt(5)
	v_mul_f16_sdwa v72, v42, v71 dst_sel:DWORD dst_unused:UNUSED_PAD src0_sel:DWORD src1_sel:WORD_1
	v_mul_f16_sdwa v73, v40, v71 dst_sel:DWORD dst_unused:UNUSED_PAD src0_sel:DWORD src1_sel:WORD_1
	v_fma_f16 v40, v40, v71, -v72
	v_fmac_f16_e32 v73, v42, v71
	v_add_nc_u32_e32 v42, 0xa00, v44
	v_add_nc_u32_e32 v71, 0x1440, v44
	v_pack_b32_f16 v40, v40, v73
	s_waitcnt vmcnt(2)
	v_mul_f16_sdwa v81, v41, v78 dst_sel:DWORD dst_unused:UNUSED_PAD src0_sel:DWORD src1_sel:WORD_1
	ds_write_b32 v44, v40
	ds_read2_b32 v[72:73], v42 offset0:8 offset1:251
	ds_read2_b32 v[74:75], v71 offset1:243
	v_lshrrev_b32_e32 v40, 16, v41
	v_mul_f16_sdwa v80, v40, v78 dst_sel:DWORD dst_unused:UNUSED_PAD src0_sel:DWORD src1_sel:WORD_1
	v_fmac_f16_e32 v81, v40, v78
	v_fma_f16 v41, v41, v78, -v80
	v_pack_b32_f16 v41, v41, v81
	s_waitcnt lgkmcnt(1)
	v_lshrrev_b32_e32 v40, 16, v72
	s_waitcnt vmcnt(1)
	v_mul_f16_sdwa v78, v72, v79 dst_sel:DWORD dst_unused:UNUSED_PAD src0_sel:DWORD src1_sel:WORD_1
	s_waitcnt lgkmcnt(0)
	v_lshrrev_b32_e32 v80, 16, v74
	s_waitcnt vmcnt(0)
	v_mul_f16_sdwa v82, v74, v43 dst_sel:DWORD dst_unused:UNUSED_PAD src0_sel:DWORD src1_sel:WORD_1
	v_lshrrev_b32_e32 v83, 16, v73
	v_mul_f16_sdwa v84, v73, v77 dst_sel:DWORD dst_unused:UNUSED_PAD src0_sel:DWORD src1_sel:WORD_1
	v_lshrrev_b32_e32 v85, 16, v75
	v_mul_f16_sdwa v87, v40, v79 dst_sel:DWORD dst_unused:UNUSED_PAD src0_sel:DWORD src1_sel:WORD_1
	v_fmac_f16_e32 v78, v40, v79
	v_mul_f16_sdwa v40, v80, v43 dst_sel:DWORD dst_unused:UNUSED_PAD src0_sel:DWORD src1_sel:WORD_1
	v_fmac_f16_e32 v82, v80, v43
	v_mul_f16_sdwa v80, v83, v77 dst_sel:DWORD dst_unused:UNUSED_PAD src0_sel:DWORD src1_sel:WORD_1
	v_mul_f16_sdwa v86, v75, v76 dst_sel:DWORD dst_unused:UNUSED_PAD src0_sel:DWORD src1_sel:WORD_1
	v_fmac_f16_e32 v84, v83, v77
	v_mul_f16_sdwa v83, v85, v76 dst_sel:DWORD dst_unused:UNUSED_PAD src0_sel:DWORD src1_sel:WORD_1
	v_fma_f16 v72, v72, v79, -v87
	v_fma_f16 v40, v74, v43, -v40
	;; [unrolled: 1-line block ×3, first 2 shown]
	v_fmac_f16_e32 v86, v85, v76
	v_fma_f16 v73, v75, v76, -v83
	v_pack_b32_f16 v72, v72, v78
	v_pack_b32_f16 v40, v40, v82
	;; [unrolled: 1-line block ×4, first 2 shown]
	ds_write_b32 v44, v41 offset:972
	ds_write2_b32 v42, v72, v43 offset0:8 offset1:251
	ds_write2_b32 v71, v40, v73 offset1:243
	s_and_saveexec_b32 s1, vcc_lo
	s_cbranch_execz .LBB0_25
; %bb.24:
	v_add_co_u32 v40, s0, 0x1000, v38
	v_add_co_ci_u32_e64 v41, s0, 0, v39, s0
	global_load_dword v43, v[38:39], off offset:1944
	v_add_co_u32 v38, s0, 0x1800, v38
	v_add_co_ci_u32_e64 v39, s0, 0, v39, s0
	s_clause 0x1
	global_load_dword v40, v[40:41], off offset:440
	global_load_dword v38, v[38:39], off offset:984
	ds_read_b32 v39, v44 offset:1944
	ds_read_b32 v41, v44 offset:4536
	;; [unrolled: 1-line block ×3, first 2 shown]
	s_waitcnt lgkmcnt(2)
	v_lshrrev_b32_e32 v73, 16, v39
	s_waitcnt lgkmcnt(1)
	v_lshrrev_b32_e32 v75, 16, v41
	;; [unrolled: 2-line block ×3, first 2 shown]
	s_waitcnt vmcnt(2)
	v_mul_f16_sdwa v74, v73, v43 dst_sel:DWORD dst_unused:UNUSED_PAD src0_sel:DWORD src1_sel:WORD_1
	v_mul_f16_sdwa v77, v39, v43 dst_sel:DWORD dst_unused:UNUSED_PAD src0_sel:DWORD src1_sel:WORD_1
	v_fma_f16 v39, v39, v43, -v74
	s_waitcnt vmcnt(1)
	v_mul_f16_sdwa v74, v75, v40 dst_sel:DWORD dst_unused:UNUSED_PAD src0_sel:DWORD src1_sel:WORD_1
	v_mul_f16_sdwa v78, v41, v40 dst_sel:DWORD dst_unused:UNUSED_PAD src0_sel:DWORD src1_sel:WORD_1
	s_waitcnt vmcnt(0)
	v_mul_f16_sdwa v79, v76, v38 dst_sel:DWORD dst_unused:UNUSED_PAD src0_sel:DWORD src1_sel:WORD_1
	v_mul_f16_sdwa v80, v72, v38 dst_sel:DWORD dst_unused:UNUSED_PAD src0_sel:DWORD src1_sel:WORD_1
	v_fmac_f16_e32 v77, v73, v43
	v_fma_f16 v41, v41, v40, -v74
	v_fmac_f16_e32 v78, v75, v40
	v_fma_f16 v40, v72, v38, -v79
	v_fmac_f16_e32 v80, v76, v38
	v_pack_b32_f16 v38, v39, v77
	v_pack_b32_f16 v39, v41, v78
	;; [unrolled: 1-line block ×3, first 2 shown]
	ds_write_b32 v44, v38 offset:1944
	ds_write_b32 v44, v39 offset:4536
	;; [unrolled: 1-line block ×3, first 2 shown]
.LBB0_25:
	s_or_b32 exec_lo, exec_lo, s1
	s_waitcnt lgkmcnt(0)
	s_barrier
	buffer_gl0_inv
	ds_read2_b32 v[40:41], v44 offset1:243
	ds_read2_b32 v[42:43], v42 offset0:8 offset1:251
	ds_read2_b32 v[38:39], v71 offset1:243
	s_and_saveexec_b32 s0, vcc_lo
	s_cbranch_execz .LBB0_27
; %bb.26:
	ds_read_b32 v67, v44 offset:1944
	ds_read_b32 v70, v44 offset:4536
	;; [unrolled: 1-line block ×3, first 2 shown]
	s_waitcnt lgkmcnt(2)
	v_lshrrev_b32_e32 v68, 16, v67
	s_waitcnt lgkmcnt(1)
	v_lshrrev_b32_e32 v69, 16, v70
	;; [unrolled: 2-line block ×3, first 2 shown]
.LBB0_27:
	s_or_b32 exec_lo, exec_lo, s0
	v_add_f16_e32 v71, v65, v70
	v_add_f16_e32 v73, v70, v67
	v_sub_f16_e32 v74, v69, v66
	s_waitcnt lgkmcnt(1)
	v_pk_add_f16 v72, v40, v42
	v_add_f16_e32 v75, v66, v69
	v_fmac_f16_e32 v67, -0.5, v71
	v_add_f16_e32 v77, v69, v68
	v_add_f16_e32 v69, v65, v73
	s_waitcnt lgkmcnt(0)
	v_pk_add_f16 v73, v42, v38
	v_pk_add_f16 v42, v42, v38 neg_lo:[0,1] neg_hi:[0,1]
	v_pk_add_f16 v76, v41, v43
	v_fmamk_f16 v71, v74, 0xbaee, v67
	v_fmac_f16_e32 v67, 0x3aee, v74
	v_pk_add_f16 v74, v43, v39
	v_pk_add_f16 v43, v43, v39 neg_lo:[0,1] neg_hi:[0,1]
	v_fmac_f16_e32 v68, -0.5, v75
	v_sub_f16_e32 v70, v70, v65
	v_pk_fma_f16 v40, v73, 0.5, v40 op_sel_hi:[1,0,1] neg_lo:[1,0,0] neg_hi:[1,0,0]
	v_pk_mul_f16 v42, 0x3aee, v42 op_sel_hi:[0,1]
	v_pk_fma_f16 v41, v74, 0.5, v41 op_sel_hi:[1,0,1] neg_lo:[1,0,0] neg_hi:[1,0,0]
	v_pk_mul_f16 v43, 0x3aee, v43 op_sel_hi:[0,1]
	v_add_f16_e32 v65, v66, v77
	v_fmamk_f16 v66, v70, 0x3aee, v68
	v_fmac_f16_e32 v68, 0xbaee, v70
	v_pk_add_f16 v70, v40, v42 op_sel:[0,1] op_sel_hi:[1,0] neg_lo:[0,1] neg_hi:[0,1]
	v_pk_add_f16 v40, v40, v42 op_sel:[0,1] op_sel_hi:[1,0]
	v_pk_add_f16 v42, v41, v43 op_sel:[0,1] op_sel_hi:[1,0] neg_lo:[0,1] neg_hi:[0,1]
	v_pk_add_f16 v41, v41, v43 op_sel:[0,1] op_sel_hi:[1,0]
	v_pk_add_f16 v38, v72, v38
	v_pk_add_f16 v39, v76, v39
	v_bfi_b32 v43, 0xffff, v70, v40
	v_bfi_b32 v40, 0xffff, v40, v70
	;; [unrolled: 1-line block ×4, first 2 shown]
	s_barrier
	buffer_gl0_inv
	ds_write2_b32 v52, v38, v43 offset1:1
	ds_write_b32 v52, v40 offset:8
	ds_write2_b32 v55, v39, v70 offset1:1
	ds_write_b32 v55, v41 offset:8
	s_and_saveexec_b32 s0, vcc_lo
	s_cbranch_execz .LBB0_29
; %bb.28:
	v_lshlrev_b32_e32 v38, 2, v54
	v_perm_b32 v39, v66, v71, 0x5040100
	v_perm_b32 v40, v65, v69, 0x5040100
	;; [unrolled: 1-line block ×3, first 2 shown]
	ds_write2_b32 v38, v40, v39 offset1:1
	ds_write_b32 v38, v41 offset:8
.LBB0_29:
	s_or_b32 exec_lo, exec_lo, s0
	v_add_nc_u32_e32 v40, 0xa00, v44
	v_add_nc_u32_e32 v41, 0x1440, v44
	s_waitcnt lgkmcnt(0)
	s_barrier
	buffer_gl0_inv
	ds_read2_b32 v[38:39], v44 offset1:243
	ds_read2_b32 v[42:43], v40 offset0:8 offset1:251
	ds_read2_b32 v[40:41], v41 offset1:243
	s_and_saveexec_b32 s0, vcc_lo
	s_cbranch_execz .LBB0_31
; %bb.30:
	ds_read_b32 v69, v44 offset:1944
	ds_read_b32 v71, v44 offset:4536
	;; [unrolled: 1-line block ×3, first 2 shown]
	s_waitcnt lgkmcnt(2)
	v_lshrrev_b32_e32 v65, 16, v69
	s_waitcnt lgkmcnt(1)
	v_lshrrev_b32_e32 v66, 16, v71
	;; [unrolled: 2-line block ×3, first 2 shown]
.LBB0_31:
	s_or_b32 exec_lo, exec_lo, s0
	s_waitcnt lgkmcnt(1)
	v_lshrrev_b32_e32 v52, 16, v42
	s_waitcnt lgkmcnt(0)
	v_lshrrev_b32_e32 v55, 16, v40
	v_lshrrev_b32_e32 v72, 16, v43
	v_mul_f16_sdwa v74, v18, v42 dst_sel:DWORD dst_unused:UNUSED_PAD src0_sel:WORD_1 src1_sel:DWORD
	v_lshrrev_b32_e32 v75, 16, v41
	v_mul_f16_sdwa v73, v18, v52 dst_sel:DWORD dst_unused:UNUSED_PAD src0_sel:WORD_1 src1_sel:DWORD
	v_mul_f16_sdwa v76, v19, v55 dst_sel:DWORD dst_unused:UNUSED_PAD src0_sel:WORD_1 src1_sel:DWORD
	;; [unrolled: 1-line block ×3, first 2 shown]
	v_lshrrev_b32_e32 v54, 16, v38
	v_lshrrev_b32_e32 v70, 16, v39
	v_fmac_f16_e32 v73, v18, v42
	v_mul_f16_sdwa v42, v16, v72 dst_sel:DWORD dst_unused:UNUSED_PAD src0_sel:WORD_1 src1_sel:DWORD
	v_fma_f16 v18, v18, v52, -v74
	v_fmac_f16_e32 v76, v19, v40
	v_mul_f16_sdwa v40, v16, v43 dst_sel:DWORD dst_unused:UNUSED_PAD src0_sel:WORD_1 src1_sel:DWORD
	v_mul_f16_sdwa v52, v17, v75 dst_sel:DWORD dst_unused:UNUSED_PAD src0_sel:WORD_1 src1_sel:DWORD
	v_fmac_f16_e32 v42, v16, v43
	v_mul_f16_sdwa v43, v17, v41 dst_sel:DWORD dst_unused:UNUSED_PAD src0_sel:WORD_1 src1_sel:DWORD
	v_fma_f16 v19, v19, v55, -v77
	v_fma_f16 v16, v16, v72, -v40
	v_mul_f16_sdwa v40, v14, v66 dst_sel:DWORD dst_unused:UNUSED_PAD src0_sel:WORD_1 src1_sel:DWORD
	v_fmac_f16_e32 v52, v17, v41
	v_mul_f16_sdwa v41, v14, v71 dst_sel:DWORD dst_unused:UNUSED_PAD src0_sel:WORD_1 src1_sel:DWORD
	v_fma_f16 v17, v17, v75, -v43
	v_mul_f16_sdwa v43, v15, v68 dst_sel:DWORD dst_unused:UNUSED_PAD src0_sel:WORD_1 src1_sel:DWORD
	v_mul_f16_sdwa v55, v15, v67 dst_sel:DWORD dst_unused:UNUSED_PAD src0_sel:WORD_1 src1_sel:DWORD
	v_fmac_f16_e32 v40, v14, v71
	v_fma_f16 v14, v14, v66, -v41
	v_add_f16_e32 v41, v73, v76
	v_fmac_f16_e32 v43, v15, v67
	v_fma_f16 v15, v15, v68, -v55
	v_add_f16_e32 v55, v18, v19
	v_add_f16_e32 v66, v38, v73
	v_fma_f16 v67, -0.5, v41, v38
	v_sub_f16_e32 v38, v18, v19
	v_add_f16_e32 v18, v54, v18
	v_fmac_f16_e32 v54, -0.5, v55
	v_sub_f16_e32 v41, v73, v76
	v_add_f16_e32 v66, v66, v76
	v_fmamk_f16 v55, v38, 0xbaee, v67
	v_fmac_f16_e32 v67, 0x3aee, v38
	v_add_f16_e32 v18, v18, v19
	v_add_f16_e32 v19, v42, v52
	v_fmamk_f16 v68, v41, 0x3aee, v54
	v_add_f16_e32 v38, v39, v42
	v_fmac_f16_e32 v54, 0xbaee, v41
	v_add_f16_e32 v41, v16, v17
	v_fmac_f16_e32 v39, -0.5, v19
	v_sub_f16_e32 v19, v16, v17
	v_add_f16_e32 v71, v38, v52
	v_add_f16_e32 v16, v70, v16
	v_fmac_f16_e32 v70, -0.5, v41
	v_sub_f16_e32 v38, v42, v52
	v_fmamk_f16 v52, v19, 0xbaee, v39
	v_fmac_f16_e32 v39, 0x3aee, v19
	v_add_f16_e32 v16, v16, v17
	v_add_f16_e32 v17, v43, v40
	v_fmamk_f16 v19, v38, 0x3aee, v70
	v_fmac_f16_e32 v70, 0xbaee, v38
	v_add_f16_e32 v38, v15, v14
	v_add_f16_e32 v41, v69, v40
	v_fmac_f16_e32 v69, -0.5, v17
	v_sub_f16_e32 v17, v14, v15
	v_add_f16_e32 v14, v14, v65
	v_fmac_f16_e32 v65, -0.5, v38
	v_sub_f16_e32 v72, v40, v43
	v_add_f16_e32 v38, v43, v41
	v_fmamk_f16 v41, v17, 0xbaee, v69
	v_fmac_f16_e32 v69, 0x3aee, v17
	v_add_f16_e32 v40, v15, v14
	v_fmamk_f16 v42, v72, 0x3aee, v65
	v_fmac_f16_e32 v65, 0xbaee, v72
	v_pack_b32_f16 v14, v66, v18
	v_pack_b32_f16 v15, v55, v68
	;; [unrolled: 1-line block ×6, first 2 shown]
	s_barrier
	buffer_gl0_inv
	ds_write2_b32 v57, v14, v15 offset1:3
	ds_write_b32 v57, v17 offset:24
	ds_write2_b32 v56, v16, v18 offset1:3
	ds_write_b32 v56, v19 offset:24
	s_and_saveexec_b32 s0, vcc_lo
	s_cbranch_execz .LBB0_33
; %bb.32:
	v_mov_b32_e32 v14, 2
	v_perm_b32 v15, v40, v38, 0x5040100
	v_perm_b32 v16, v42, v41, 0x5040100
	;; [unrolled: 1-line block ×3, first 2 shown]
	v_lshlrev_b32_sdwa v14, v14, v53 dst_sel:DWORD dst_unused:UNUSED_PAD src0_sel:DWORD src1_sel:WORD_0
	ds_write2_b32 v14, v15, v16 offset1:3
	ds_write_b32 v14, v17 offset:24
.LBB0_33:
	s_or_b32 exec_lo, exec_lo, s0
	v_add_nc_u32_e32 v16, 0xa00, v44
	v_add_nc_u32_e32 v17, 0x1440, v44
	s_waitcnt lgkmcnt(0)
	s_barrier
	buffer_gl0_inv
	ds_read2_b32 v[14:15], v44 offset1:243
	ds_read2_b32 v[18:19], v16 offset0:8 offset1:251
	ds_read2_b32 v[16:17], v17 offset1:243
	s_and_saveexec_b32 s0, vcc_lo
	s_cbranch_execz .LBB0_35
; %bb.34:
	ds_read_b32 v38, v44 offset:1944
	ds_read_b32 v41, v44 offset:4536
	;; [unrolled: 1-line block ×3, first 2 shown]
	s_waitcnt lgkmcnt(2)
	v_lshrrev_b32_e32 v40, 16, v38
	s_waitcnt lgkmcnt(1)
	v_lshrrev_b32_e32 v42, 16, v41
	;; [unrolled: 2-line block ×3, first 2 shown]
.LBB0_35:
	s_or_b32 exec_lo, exec_lo, s0
	s_waitcnt lgkmcnt(1)
	v_lshrrev_b32_e32 v39, 16, v18
	s_waitcnt lgkmcnt(0)
	v_lshrrev_b32_e32 v52, 16, v16
	v_lshrrev_b32_e32 v54, 16, v19
	v_mul_f16_sdwa v56, v24, v18 dst_sel:DWORD dst_unused:UNUSED_PAD src0_sel:WORD_1 src1_sel:DWORD
	v_lshrrev_b32_e32 v57, 16, v17
	v_mul_f16_sdwa v55, v24, v39 dst_sel:DWORD dst_unused:UNUSED_PAD src0_sel:WORD_1 src1_sel:DWORD
	v_mul_f16_sdwa v66, v25, v52 dst_sel:DWORD dst_unused:UNUSED_PAD src0_sel:WORD_1 src1_sel:DWORD
	;; [unrolled: 1-line block ×3, first 2 shown]
	v_lshrrev_b32_e32 v43, 16, v14
	v_lshrrev_b32_e32 v53, 16, v15
	v_fmac_f16_e32 v55, v24, v18
	v_fma_f16 v18, v24, v39, -v56
	v_mul_f16_sdwa v24, v22, v54 dst_sel:DWORD dst_unused:UNUSED_PAD src0_sel:WORD_1 src1_sel:DWORD
	v_fmac_f16_e32 v66, v25, v16
	v_mul_f16_sdwa v16, v22, v19 dst_sel:DWORD dst_unused:UNUSED_PAD src0_sel:WORD_1 src1_sel:DWORD
	v_mul_f16_sdwa v39, v23, v57 dst_sel:DWORD dst_unused:UNUSED_PAD src0_sel:WORD_1 src1_sel:DWORD
	v_fma_f16 v25, v25, v52, -v67
	v_fmac_f16_e32 v24, v22, v19
	v_mul_f16_sdwa v19, v23, v17 dst_sel:DWORD dst_unused:UNUSED_PAD src0_sel:WORD_1 src1_sel:DWORD
	v_fma_f16 v16, v22, v54, -v16
	v_mul_f16_sdwa v22, v20, v42 dst_sel:DWORD dst_unused:UNUSED_PAD src0_sel:WORD_1 src1_sel:DWORD
	v_fmac_f16_e32 v39, v23, v17
	v_mul_f16_sdwa v17, v20, v41 dst_sel:DWORD dst_unused:UNUSED_PAD src0_sel:WORD_1 src1_sel:DWORD
	v_fma_f16 v19, v23, v57, -v19
	v_mul_f16_sdwa v23, v21, v65 dst_sel:DWORD dst_unused:UNUSED_PAD src0_sel:WORD_1 src1_sel:DWORD
	v_fmac_f16_e32 v22, v20, v41
	v_mul_f16_sdwa v41, v21, v69 dst_sel:DWORD dst_unused:UNUSED_PAD src0_sel:WORD_1 src1_sel:DWORD
	v_fma_f16 v17, v20, v42, -v17
	v_add_f16_e32 v20, v55, v66
	v_fmac_f16_e32 v23, v21, v69
	v_add_f16_e32 v42, v14, v55
	v_fma_f16 v21, v21, v65, -v41
	v_add_f16_e32 v41, v18, v25
	v_fma_f16 v14, -0.5, v20, v14
	v_sub_f16_e32 v20, v18, v25
	v_add_f16_e32 v18, v43, v18
	v_add_f16_e32 v54, v15, v24
	v_fmac_f16_e32 v43, -0.5, v41
	v_sub_f16_e32 v41, v55, v66
	v_fmamk_f16 v52, v20, 0xbaee, v14
	v_fmac_f16_e32 v14, 0x3aee, v20
	v_add_f16_e32 v20, v24, v39
	v_add_f16_e32 v18, v18, v25
	v_fmamk_f16 v25, v41, 0x3aee, v43
	v_fmac_f16_e32 v43, 0xbaee, v41
	v_add_f16_e32 v41, v16, v19
	v_fmac_f16_e32 v15, -0.5, v20
	v_sub_f16_e32 v20, v16, v19
	v_add_f16_e32 v16, v53, v16
	v_add_f16_e32 v54, v54, v39
	v_fmac_f16_e32 v53, -0.5, v41
	v_sub_f16_e32 v24, v24, v39
	v_fmamk_f16 v39, v20, 0xbaee, v15
	v_fmac_f16_e32 v15, 0x3aee, v20
	v_add_f16_e32 v16, v16, v19
	v_add_f16_e32 v19, v23, v22
	;; [unrolled: 1-line block ×4, first 2 shown]
	v_fmamk_f16 v41, v24, 0x3aee, v53
	v_fmac_f16_e32 v53, 0xbaee, v24
	v_add_f16_e32 v24, v38, v22
	v_fmac_f16_e32 v38, -0.5, v19
	v_sub_f16_e32 v19, v17, v21
	v_add_f16_e32 v17, v17, v40
	v_fmac_f16_e32 v40, -0.5, v20
	v_sub_f16_e32 v55, v22, v23
	v_add_f16_e32 v20, v23, v24
	v_fmamk_f16 v23, v19, 0xbaee, v38
	v_fmac_f16_e32 v38, 0x3aee, v19
	v_add_f16_e32 v21, v21, v17
	v_fmamk_f16 v22, v55, 0x3aee, v40
	v_fmac_f16_e32 v40, 0xbaee, v55
	v_pack_b32_f16 v17, v42, v18
	v_pack_b32_f16 v18, v52, v25
	;; [unrolled: 1-line block ×6, first 2 shown]
	s_barrier
	buffer_gl0_inv
	ds_write2_b32 v59, v17, v18 offset1:9
	ds_write_b32 v59, v14 offset:72
	ds_write2_b32 v60, v16, v19 offset1:9
	ds_write_b32 v60, v15 offset:72
	s_and_saveexec_b32 s0, vcc_lo
	s_cbranch_execz .LBB0_37
; %bb.36:
	v_mov_b32_e32 v14, 2
	v_perm_b32 v15, v21, v20, 0x5040100
	v_perm_b32 v16, v22, v23, 0x5040100
	v_perm_b32 v17, v40, v38, 0x5040100
	v_lshlrev_b32_sdwa v14, v14, v58 dst_sel:DWORD dst_unused:UNUSED_PAD src0_sel:DWORD src1_sel:WORD_0
	ds_write2_b32 v14, v15, v16 offset1:9
	ds_write_b32 v14, v17 offset:72
.LBB0_37:
	s_or_b32 exec_lo, exec_lo, s0
	v_add_nc_u32_e32 v16, 0xa00, v44
	v_add_nc_u32_e32 v17, 0x1440, v44
	s_waitcnt lgkmcnt(0)
	s_barrier
	buffer_gl0_inv
	ds_read2_b32 v[14:15], v44 offset1:243
	ds_read2_b32 v[18:19], v16 offset0:8 offset1:251
	ds_read2_b32 v[16:17], v17 offset1:243
	s_and_saveexec_b32 s0, vcc_lo
	s_cbranch_execz .LBB0_39
; %bb.38:
	ds_read_b32 v20, v44 offset:1944
	ds_read_b32 v23, v44 offset:4536
	ds_read_b32 v38, v44 offset:7128
	s_waitcnt lgkmcnt(2)
	v_lshrrev_b32_e32 v21, 16, v20
	s_waitcnt lgkmcnt(1)
	v_lshrrev_b32_e32 v22, 16, v23
	;; [unrolled: 2-line block ×3, first 2 shown]
.LBB0_39:
	s_or_b32 exec_lo, exec_lo, s0
	s_waitcnt lgkmcnt(1)
	v_lshrrev_b32_e32 v24, 16, v18
	s_waitcnt lgkmcnt(0)
	v_lshrrev_b32_e32 v25, 16, v16
	v_lshrrev_b32_e32 v42, 16, v19
	v_mul_f16_sdwa v55, v31, v16 dst_sel:DWORD dst_unused:UNUSED_PAD src0_sel:WORD_1 src1_sel:DWORD
	v_lshrrev_b32_e32 v52, 16, v17
	v_mul_f16_sdwa v43, v30, v24 dst_sel:DWORD dst_unused:UNUSED_PAD src0_sel:WORD_1 src1_sel:DWORD
	v_mul_f16_sdwa v54, v31, v25 dst_sel:DWORD dst_unused:UNUSED_PAD src0_sel:WORD_1 src1_sel:DWORD
	;; [unrolled: 1-line block ×4, first 2 shown]
	v_lshrrev_b32_e32 v39, 16, v14
	v_fmac_f16_e32 v43, v30, v18
	v_fmac_f16_e32 v54, v31, v16
	v_fma_f16 v16, v31, v25, -v55
	v_mul_f16_sdwa v25, v28, v19 dst_sel:DWORD dst_unused:UNUSED_PAD src0_sel:WORD_1 src1_sel:DWORD
	v_mul_f16_sdwa v18, v26, v22 dst_sel:DWORD dst_unused:UNUSED_PAD src0_sel:WORD_1 src1_sel:DWORD
	v_fma_f16 v24, v30, v24, -v53
	v_fmac_f16_e32 v56, v28, v19
	v_mul_f16_sdwa v30, v29, v52 dst_sel:DWORD dst_unused:UNUSED_PAD src0_sel:WORD_1 src1_sel:DWORD
	v_mul_f16_sdwa v19, v29, v17 dst_sel:DWORD dst_unused:UNUSED_PAD src0_sel:WORD_1 src1_sel:DWORD
	v_fma_f16 v25, v28, v42, -v25
	v_mul_f16_sdwa v28, v26, v23 dst_sel:DWORD dst_unused:UNUSED_PAD src0_sel:WORD_1 src1_sel:DWORD
	v_fmac_f16_e32 v18, v26, v23
	v_add_f16_e32 v23, v43, v54
	v_fmac_f16_e32 v30, v29, v17
	v_fma_f16 v29, v29, v52, -v19
	v_fma_f16 v19, v26, v22, -v28
	v_add_f16_e32 v26, v14, v43
	v_fma_f16 v28, -0.5, v23, v14
	v_sub_f16_e32 v14, v24, v16
	v_mul_f16_sdwa v17, v27, v40 dst_sel:DWORD dst_unused:UNUSED_PAD src0_sel:WORD_1 src1_sel:DWORD
	v_mul_f16_sdwa v22, v27, v38 dst_sel:DWORD dst_unused:UNUSED_PAD src0_sel:WORD_1 src1_sel:DWORD
	v_add_f16_e32 v23, v24, v16
	v_add_f16_e32 v24, v39, v24
	v_fmamk_f16 v31, v14, 0xbaee, v28
	v_fmac_f16_e32 v28, 0x3aee, v14
	v_add_f16_e32 v14, v56, v30
	v_lshrrev_b32_e32 v41, 16, v15
	v_fmac_f16_e32 v17, v27, v38
	v_fma_f16 v22, v27, v40, -v22
	v_add_f16_e32 v27, v26, v54
	v_add_f16_e32 v26, v15, v56
	v_fmac_f16_e32 v15, -0.5, v14
	v_sub_f16_e32 v14, v25, v29
	v_add_f16_e32 v38, v24, v16
	v_add_f16_e32 v16, v25, v29
	v_fmac_f16_e32 v39, -0.5, v23
	v_sub_f16_e32 v23, v43, v54
	v_fmamk_f16 v43, v14, 0xbaee, v15
	v_fmac_f16_e32 v15, 0x3aee, v14
	v_add_f16_e32 v14, v17, v18
	v_add_f16_e32 v24, v22, v19
	;; [unrolled: 1-line block ×3, first 2 shown]
	v_fmac_f16_e32 v41, -0.5, v16
	v_sub_f16_e32 v16, v56, v30
	v_fmamk_f16 v40, v23, 0x3aee, v39
	v_fmac_f16_e32 v39, 0xbaee, v23
	v_add_f16_e32 v42, v26, v30
	v_fma_f16 v23, -0.5, v14, v20
	v_sub_f16_e32 v25, v19, v22
	v_fma_f16 v24, -0.5, v24, v21
	v_sub_f16_e32 v26, v18, v17
	v_add_f16_e32 v29, v52, v29
	v_fmamk_f16 v30, v16, 0x3aee, v41
	v_fmac_f16_e32 v41, 0xbaee, v16
	v_fmamk_f16 v14, v25, 0x3aee, v23
	v_fmamk_f16 v16, v26, 0xbaee, v24
	v_pack_b32_f16 v27, v27, v38
	v_pack_b32_f16 v31, v31, v40
	;; [unrolled: 1-line block ×6, first 2 shown]
	s_barrier
	buffer_gl0_inv
	ds_write2_b32 v62, v27, v31 offset1:27
	ds_write_b32 v62, v28 offset:216
	ds_write2_b32 v63, v29, v30 offset1:27
	ds_write_b32 v63, v15 offset:216
	s_and_saveexec_b32 s0, vcc_lo
	s_cbranch_execz .LBB0_41
; %bb.40:
	v_mul_f16_e32 v15, 0x3aee, v26
	v_add_f16_e32 v19, v19, v21
	v_add_f16_e32 v18, v20, v18
	v_mul_f16_e32 v20, 0x3aee, v25
	v_mov_b32_e32 v21, 2
	v_add_f16_e32 v15, v15, v24
	v_add_f16_e32 v19, v22, v19
	;; [unrolled: 1-line block ×3, first 2 shown]
	v_sub_f16_e32 v18, v23, v20
	v_lshlrev_b32_sdwa v20, v21, v61 dst_sel:DWORD dst_unused:UNUSED_PAD src0_sel:DWORD src1_sel:WORD_0
	v_pack_b32_f16 v17, v17, v19
	v_pack_b32_f16 v15, v18, v15
	v_perm_b32 v18, v16, v14, 0x5040100
	ds_write2_b32 v20, v17, v15 offset1:27
	ds_write_b32 v20, v18 offset:216
.LBB0_41:
	s_or_b32 exec_lo, exec_lo, s0
	s_waitcnt lgkmcnt(0)
	s_barrier
	buffer_gl0_inv
	ds_read2_b32 v[17:18], v44 offset1:243
	v_add_nc_u32_e32 v15, 0x780, v44
	v_add_nc_u32_e32 v21, 0xf00, v44
	;; [unrolled: 1-line block ×3, first 2 shown]
	ds_read2_b32 v[19:20], v15 offset0:6 offset1:249
	ds_read2_b32 v[21:22], v21 offset0:12 offset1:255
	;; [unrolled: 1-line block ×3, first 2 shown]
	s_waitcnt lgkmcnt(0)
	s_barrier
	buffer_gl0_inv
	v_lshrrev_b32_e32 v25, 16, v18
	v_mul_f16_sdwa v26, v0, v18 dst_sel:DWORD dst_unused:UNUSED_PAD src0_sel:WORD_1 src1_sel:DWORD
	v_lshrrev_b32_e32 v15, 16, v17
	v_lshrrev_b32_e32 v27, 16, v19
	v_lshrrev_b32_e32 v28, 16, v20
	v_lshrrev_b32_e32 v29, 16, v21
	v_mul_f16_sdwa v39, v0, v25 dst_sel:DWORD dst_unused:UNUSED_PAD src0_sel:WORD_1 src1_sel:DWORD
	v_fma_f16 v25, v0, v25, -v26
	v_mul_f16_sdwa v26, v1, v19 dst_sel:DWORD dst_unused:UNUSED_PAD src0_sel:WORD_1 src1_sel:DWORD
	v_mul_f16_sdwa v40, v2, v20 dst_sel:DWORD dst_unused:UNUSED_PAD src0_sel:WORD_1 src1_sel:DWORD
	v_lshrrev_b32_e32 v30, 16, v22
	v_mul_f16_sdwa v41, v3, v21 dst_sel:DWORD dst_unused:UNUSED_PAD src0_sel:WORD_1 src1_sel:DWORD
	v_fmac_f16_e32 v39, v0, v18
	v_mul_f16_sdwa v0, v1, v27 dst_sel:DWORD dst_unused:UNUSED_PAD src0_sel:WORD_1 src1_sel:DWORD
	v_fma_f16 v18, v1, v27, -v26
	v_mul_f16_sdwa v26, v2, v28 dst_sel:DWORD dst_unused:UNUSED_PAD src0_sel:WORD_1 src1_sel:DWORD
	v_fma_f16 v27, v2, v28, -v40
	v_mul_f16_sdwa v28, v3, v29 dst_sel:DWORD dst_unused:UNUSED_PAD src0_sel:WORD_1 src1_sel:DWORD
	v_lshrrev_b32_e32 v31, 16, v23
	v_lshrrev_b32_e32 v38, 16, v24
	v_mul_f16_sdwa v42, v4, v22 dst_sel:DWORD dst_unused:UNUSED_PAD src0_sel:WORD_1 src1_sel:DWORD
	v_mul_f16_sdwa v40, v4, v30 dst_sel:DWORD dst_unused:UNUSED_PAD src0_sel:WORD_1 src1_sel:DWORD
	v_fma_f16 v29, v3, v29, -v41
	v_fmac_f16_e32 v28, v3, v21
	v_mul_f16_sdwa v3, v5, v23 dst_sel:DWORD dst_unused:UNUSED_PAD src0_sel:WORD_1 src1_sel:DWORD
	v_fmac_f16_e32 v0, v1, v19
	v_fmac_f16_e32 v26, v2, v20
	;; [unrolled: 1-line block ×3, first 2 shown]
	v_mul_f16_sdwa v1, v5, v31 dst_sel:DWORD dst_unused:UNUSED_PAD src0_sel:WORD_1 src1_sel:DWORD
	v_fma_f16 v2, v4, v30, -v42
	v_mul_f16_sdwa v4, v6, v38 dst_sel:DWORD dst_unused:UNUSED_PAD src0_sel:WORD_1 src1_sel:DWORD
	v_mul_f16_sdwa v19, v6, v24 dst_sel:DWORD dst_unused:UNUSED_PAD src0_sel:WORD_1 src1_sel:DWORD
	v_fma_f16 v3, v5, v31, -v3
	v_fmac_f16_e32 v1, v5, v23
	v_sub_f16_e32 v20, v17, v28
	v_fmac_f16_e32 v4, v6, v24
	v_fma_f16 v5, v6, v38, -v19
	v_sub_f16_e32 v6, v15, v29
	v_sub_f16_e32 v3, v18, v3
	;; [unrolled: 1-line block ×5, first 2 shown]
	v_fma_f16 v15, v15, 2.0, -v6
	v_fma_f16 v18, v18, 2.0, -v3
	;; [unrolled: 1-line block ×3, first 2 shown]
	v_sub_f16_e32 v2, v25, v2
	v_fma_f16 v0, v0, 2.0, -v1
	v_fma_f16 v21, v39, 2.0, -v19
	v_sub_f16_e32 v5, v27, v5
	v_sub_f16_e32 v23, v15, v18
	v_fma_f16 v18, v26, 2.0, -v4
	v_fma_f16 v22, v25, 2.0, -v2
	v_sub_f16_e32 v0, v17, v0
	v_fma_f16 v24, v27, 2.0, -v5
	v_sub_f16_e32 v1, v6, v1
	v_sub_f16_e32 v25, v21, v18
	;; [unrolled: 1-line block ×3, first 2 shown]
	v_add_f16_e32 v3, v20, v3
	v_add_f16_e32 v5, v19, v5
	v_fma_f16 v17, v17, 2.0, -v0
	v_sub_f16_e32 v24, v22, v24
	v_fma_f16 v26, v6, 2.0, -v1
	v_fma_f16 v6, v21, 2.0, -v25
	;; [unrolled: 1-line block ×7, first 2 shown]
	v_sub_f16_e32 v21, v17, v6
	v_fmamk_f16 v27, v2, 0xb9a8, v26
	v_fmamk_f16 v22, v18, 0xb9a8, v20
	v_add_f16_e32 v6, v0, v24
	v_sub_f16_e32 v19, v15, v19
	v_fma_f16 v28, v17, 2.0, -v21
	v_fmac_f16_e32 v27, 0xb9a8, v18
	v_fmamk_f16 v17, v5, 0x39a8, v3
	v_fmamk_f16 v18, v4, 0x39a8, v1
	v_fmac_f16_e32 v22, 0x39a8, v2
	v_fma_f16 v2, v15, 2.0, -v19
	v_sub_f16_e32 v15, v23, v25
	v_fmac_f16_e32 v17, 0x39a8, v4
	v_fmac_f16_e32 v18, 0xb9a8, v5
	v_fma_f16 v20, v20, 2.0, -v22
	v_fma_f16 v4, v26, 2.0, -v27
	;; [unrolled: 1-line block ×6, first 2 shown]
	v_pack_b32_f16 v2, v28, v2
	v_pack_b32_f16 v4, v20, v4
	;; [unrolled: 1-line block ×6, first 2 shown]
	v_add_nc_u32_e32 v19, 0x400, v64
	v_pack_b32_f16 v20, v6, v15
	v_pack_b32_f16 v21, v17, v18
	v_add_nc_u32_e32 v22, 0x600, v64
	ds_write2_b32 v64, v2, v4 offset1:81
	ds_write2_b32 v64, v0, v1 offset0:162 offset1:243
	ds_write2_b32 v19, v3, v5 offset0:68 offset1:149
	;; [unrolled: 1-line block ×3, first 2 shown]
	v_add_nc_u32_e32 v2, 0xa00, v44
	v_add_nc_u32_e32 v3, 0x1440, v44
	s_waitcnt lgkmcnt(0)
	s_barrier
	buffer_gl0_inv
	ds_read2_b32 v[0:1], v44 offset1:243
	ds_read2_b32 v[4:5], v2 offset0:8 offset1:251
	ds_read2_b32 v[2:3], v3 offset1:243
	s_and_saveexec_b32 s0, vcc_lo
	s_cbranch_execz .LBB0_43
; %bb.42:
	ds_read_b32 v6, v44 offset:1944
	ds_read_b32 v17, v44 offset:4536
	;; [unrolled: 1-line block ×3, first 2 shown]
	s_waitcnt lgkmcnt(2)
	v_lshrrev_b32_e32 v15, 16, v6
	s_waitcnt lgkmcnt(1)
	v_lshrrev_b32_e32 v18, 16, v17
	;; [unrolled: 2-line block ×3, first 2 shown]
.LBB0_43:
	s_or_b32 exec_lo, exec_lo, s0
	s_waitcnt lgkmcnt(1)
	v_lshrrev_b32_e32 v19, 16, v4
	s_waitcnt lgkmcnt(0)
	v_lshrrev_b32_e32 v21, 16, v2
	v_lshrrev_b32_e32 v23, 16, v5
	v_mul_f16_sdwa v25, v36, v4 dst_sel:DWORD dst_unused:UNUSED_PAD src0_sel:WORD_1 src1_sel:DWORD
	v_mul_f16_sdwa v28, v37, v2 dst_sel:DWORD dst_unused:UNUSED_PAD src0_sel:WORD_1 src1_sel:DWORD
	;; [unrolled: 1-line block ×4, first 2 shown]
	v_lshrrev_b32_e32 v26, 16, v3
	v_lshrrev_b32_e32 v20, 16, v0
	v_fma_f16 v21, v37, v21, -v28
	v_fmac_f16_e32 v24, v36, v4
	v_fma_f16 v4, v36, v19, -v25
	v_mul_f16_sdwa v19, v34, v23 dst_sel:DWORD dst_unused:UNUSED_PAD src0_sel:WORD_1 src1_sel:DWORD
	v_fmac_f16_e32 v27, v37, v2
	v_mul_f16_sdwa v2, v34, v5 dst_sel:DWORD dst_unused:UNUSED_PAD src0_sel:WORD_1 src1_sel:DWORD
	v_mul_f16_sdwa v25, v35, v26 dst_sel:DWORD dst_unused:UNUSED_PAD src0_sel:WORD_1 src1_sel:DWORD
	v_lshrrev_b32_e32 v22, 16, v1
	v_fmac_f16_e32 v19, v34, v5
	v_mul_f16_sdwa v5, v35, v3 dst_sel:DWORD dst_unused:UNUSED_PAD src0_sel:WORD_1 src1_sel:DWORD
	v_fma_f16 v2, v34, v23, -v2
	v_add_f16_e32 v23, v24, v27
	v_fmac_f16_e32 v25, v35, v3
	v_add_f16_e32 v3, v0, v24
	v_fma_f16 v5, v35, v26, -v5
	v_add_f16_e32 v26, v4, v21
	v_fma_f16 v0, -0.5, v23, v0
	v_sub_f16_e32 v23, v4, v21
	v_add_f16_e32 v4, v20, v4
	v_sub_f16_e32 v24, v24, v27
	v_fmac_f16_e32 v20, -0.5, v26
	v_add_f16_e32 v3, v3, v27
	v_fmamk_f16 v26, v23, 0xbaee, v0
	v_add_f16_e32 v4, v4, v21
	v_add_f16_e32 v21, v19, v25
	v_fmac_f16_e32 v0, 0x3aee, v23
	v_fmamk_f16 v23, v24, 0x3aee, v20
	v_fmac_f16_e32 v20, 0xbaee, v24
	v_add_f16_e32 v24, v2, v5
	v_add_f16_e32 v27, v1, v19
	v_fmac_f16_e32 v1, -0.5, v21
	v_sub_f16_e32 v21, v2, v5
	v_add_f16_e32 v2, v22, v2
	v_fmac_f16_e32 v22, -0.5, v24
	v_sub_f16_e32 v19, v19, v25
	v_add_f16_e32 v24, v27, v25
	v_fmamk_f16 v25, v21, 0xbaee, v1
	v_add_f16_e32 v2, v2, v5
	v_fmac_f16_e32 v1, 0x3aee, v21
	v_fmamk_f16 v5, v19, 0x3aee, v22
	v_fmac_f16_e32 v22, 0xbaee, v19
	v_pack_b32_f16 v3, v3, v4
	v_pack_b32_f16 v4, v26, v23
	;; [unrolled: 1-line block ×6, first 2 shown]
	ds_write_b32 v44, v4 offset:2592
	ds_write_b32 v44, v0 offset:5184
	ds_write2_b32 v44, v3, v2 offset1:243
	ds_write_b32 v44, v5 offset:3564
	ds_write_b32 v44, v1 offset:6156
	s_and_saveexec_b32 s0, vcc_lo
	s_cbranch_execz .LBB0_45
; %bb.44:
	v_mul_f16_sdwa v0, v32, v18 dst_sel:DWORD dst_unused:UNUSED_PAD src0_sel:WORD_1 src1_sel:DWORD
	v_mul_f16_sdwa v1, v33, v16 dst_sel:DWORD dst_unused:UNUSED_PAD src0_sel:WORD_1 src1_sel:DWORD
	;; [unrolled: 1-line block ×4, first 2 shown]
	v_fmac_f16_e32 v0, v32, v17
	v_fmac_f16_e32 v1, v33, v14
	v_fma_f16 v2, v32, v18, -v2
	v_fma_f16 v3, v33, v16, -v3
	v_add_f16_e32 v14, v1, v0
	v_sub_f16_e32 v4, v0, v1
	v_add_f16_e32 v5, v3, v2
	v_sub_f16_e32 v16, v2, v3
	v_add_f16_e32 v2, v2, v15
	v_add_f16_e32 v0, v6, v0
	v_fma_f16 v6, -0.5, v14, v6
	v_fma_f16 v5, -0.5, v5, v15
	v_add_f16_e32 v2, v3, v2
	v_add_f16_e32 v0, v1, v0
	v_fmamk_f16 v3, v16, 0xbaee, v6
	v_fmamk_f16 v1, v4, 0x3aee, v5
	v_fmac_f16_e32 v5, 0xbaee, v4
	v_fmac_f16_e32 v6, 0x3aee, v16
	v_pack_b32_f16 v0, v0, v2
	v_pack_b32_f16 v1, v3, v1
	;; [unrolled: 1-line block ×3, first 2 shown]
	ds_write_b32 v44, v0 offset:1944
	ds_write_b32 v44, v1 offset:4536
	;; [unrolled: 1-line block ×3, first 2 shown]
.LBB0_45:
	s_or_b32 exec_lo, exec_lo, s0
	s_waitcnt lgkmcnt(0)
	s_barrier
	buffer_gl0_inv
	ds_read2_b32 v[4:5], v44 offset1:243
	v_add_nc_u32_e32 v0, 0xa00, v44
	v_mad_u64_u32 v[14:15], null, s10, v13, 0
	s_mov_b32 s4, 0xa88f4696
	s_mov_b32 s5, 0x3f40db20
	ds_read2_b32 v[2:3], v0 offset0:8 offset1:251
	s_waitcnt lgkmcnt(1)
	v_lshrrev_b32_e32 v0, 16, v4
	v_mul_f16_sdwa v1, v49, v4 dst_sel:DWORD dst_unused:UNUSED_PAD src0_sel:WORD_1 src1_sel:DWORD
	v_mul_f16_sdwa v6, v49, v0 dst_sel:DWORD dst_unused:UNUSED_PAD src0_sel:WORD_1 src1_sel:DWORD
	v_fma_f16 v0, v49, v0, -v1
	v_add_nc_u32_e32 v1, 0x1440, v44
	s_waitcnt lgkmcnt(0)
	v_lshrrev_b32_e32 v22, 16, v2
	v_mul_f16_sdwa v18, v51, v2 dst_sel:DWORD dst_unused:UNUSED_PAD src0_sel:WORD_1 src1_sel:DWORD
	v_fmac_f16_e32 v6, v49, v4
	v_cvt_f32_f16_e32 v4, v0
	ds_read2_b32 v[0:1], v1 offset1:243
	v_cvt_f32_f16_e32 v6, v6
	v_cvt_f64_f32_e32 v[16:17], v4
	v_fma_f16 v4, v51, v22, -v18
	v_mad_u64_u32 v[18:19], null, s8, v48, 0
	v_cvt_f64_f32_e32 v[20:21], v6
	v_mul_f16_sdwa v6, v51, v22 dst_sel:DWORD dst_unused:UNUSED_PAD src0_sel:WORD_1 src1_sel:DWORD
	v_cvt_f32_f16_e32 v22, v4
	v_mov_b32_e32 v4, v15
	v_fmac_f16_e32 v6, v51, v2
	v_cvt_f64_f32_e32 v[22:23], v22
	v_mov_b32_e32 v2, v19
	v_mad_u64_u32 v[24:25], null, s11, v13, v[4:5]
	v_cvt_f32_f16_e32 v6, v6
	v_mad_u64_u32 v[25:26], null, s9, v48, v[2:3]
	s_waitcnt lgkmcnt(0)
	v_lshrrev_b32_e32 v2, 16, v0
	v_cvt_f64_f32_e32 v[26:27], v6
	v_mov_b32_e32 v15, v24
	v_mul_f64 v[16:17], v[16:17], s[4:5]
	v_mul_f16_sdwa v6, v50, v0 dst_sel:DWORD dst_unused:UNUSED_PAD src0_sel:WORD_1 src1_sel:DWORD
	v_mul_f16_sdwa v4, v50, v2 dst_sel:DWORD dst_unused:UNUSED_PAD src0_sel:WORD_1 src1_sel:DWORD
	v_mov_b32_e32 v19, v25
	v_mul_f64 v[20:21], v[20:21], s[4:5]
	v_lshlrev_b64 v[13:14], 2, v[14:15]
	v_fmac_f16_e32 v4, v50, v0
	v_fma_f16 v0, v50, v2, -v6
	v_lshlrev_b64 v[18:19], 2, v[18:19]
	v_mul_f64 v[22:23], v[22:23], s[4:5]
	v_cvt_f32_f16_e32 v2, v4
	v_add_co_u32 v4, s0, s6, v13
	v_add_co_ci_u32_e64 v6, s0, s7, v14, s0
	v_cvt_f64_f32_e32 v[13:14], v2
	v_cvt_f32_f16_e32 v0, v0
	v_mul_f64 v[24:25], v[26:27], s[4:5]
	v_and_or_b32 v2, 0x1ff, v17, v16
	v_lshrrev_b32_e32 v15, 8, v17
	v_bfe_u32 v16, v17, 20, 11
	v_lshrrev_b32_e32 v17, 16, v17
	v_and_or_b32 v20, 0x1ff, v21, v20
	v_cmp_ne_u32_e64 s0, 0, v2
	v_lshrrev_b32_e32 v26, 8, v21
	v_bfe_u32 v27, v21, 20, 11
	v_sub_nc_u32_e32 v28, 0x3f1, v16
	v_add_nc_u32_e32 v16, 0xfffffc10, v16
	v_cndmask_b32_e64 v2, 0, 1, s0
	v_cmp_ne_u32_e64 s0, 0, v20
	v_and_or_b32 v22, 0x1ff, v23, v22
	v_sub_nc_u32_e32 v31, 0x3f1, v27
	v_bfe_u32 v30, v23, 20, 11
	v_and_or_b32 v2, 0xffe, v15, v2
	v_cndmask_b32_e64 v20, 0, 1, s0
	v_cmp_ne_u32_e64 s0, 0, v22
	v_lshrrev_b32_e32 v29, 8, v23
	v_med3_i32 v15, v28, 0, 13
	v_and_or_b32 v24, 0x1ff, v25, v24
	v_and_or_b32 v20, 0xffe, v26, v20
	v_cndmask_b32_e64 v22, 0, 1, s0
	v_med3_i32 v26, v31, 0, 13
	v_cmp_ne_u32_e64 s0, 0, v2
	v_sub_nc_u32_e32 v33, 0x3f1, v30
	v_or_b32_e32 v35, 0x1000, v20
	v_or_b32_e32 v31, 0x1000, v2
	v_lshl_or_b32 v34, v16, 12, v2
	v_cndmask_b32_e64 v2, 0, 1, s0
	v_cmp_ne_u32_e64 s0, 0, v24
	v_lshrrev_b32_e32 v37, v26, v35
	v_add_nc_u32_e32 v27, 0xfffffc10, v27
	v_and_or_b32 v22, 0xffe, v29, v22
	v_med3_i32 v29, v33, 0, 13
	v_cndmask_b32_e64 v24, 0, 1, s0
	v_lshrrev_b32_e32 v33, v15, v31
	v_lshlrev_b32_e32 v26, v26, v37
	v_cmp_ne_u32_e64 s0, 0, v20
	v_lshrrev_b32_e32 v28, 8, v25
	v_bfe_u32 v32, v25, 20, 11
	v_lshl_or_b32 v38, v27, 12, v20
	v_lshlrev_b32_e32 v15, v15, v33
	v_cndmask_b32_e64 v20, 0, 1, s0
	v_cmp_ne_u32_e64 s0, v26, v35
	v_sub_nc_u32_e32 v36, 0x3f1, v32
	v_and_or_b32 v24, 0xffe, v28, v24
	v_add_nc_u32_e32 v32, 0xfffffc10, v32
	v_lshl_or_b32 v20, v20, 9, 0x7c00
	v_cndmask_b32_e64 v26, 0, 1, s0
	v_cmp_ne_u32_e64 s0, v15, v31
	v_med3_i32 v28, v36, 0, 13
	v_or_b32_e32 v31, 0x1000, v24
	v_lshl_or_b32 v36, v32, 12, v24
	v_or_b32_e32 v26, v37, v26
	v_cndmask_b32_e64 v15, 0, 1, s0
	v_cmp_gt_i32_e64 s0, 1, v27
	v_lshrrev_b32_e32 v21, 16, v21
	v_lshl_or_b32 v2, v2, 9, 0x7c00
	v_or_b32_e32 v35, 0x1000, v22
	v_or_b32_e32 v15, v33, v15
	v_lshrrev_b32_e32 v33, v28, v31
	v_cndmask_b32_e64 v26, v38, v26, s0
	v_cmp_gt_i32_e64 s0, 1, v16
	v_mul_f64 v[13:14], v[13:14], s[4:5]
	v_lshlrev_b32_e32 v28, v28, v33
	v_cndmask_b32_e64 v15, v34, v15, s0
	v_and_b32_e32 v34, 7, v26
	v_lshrrev_b32_e32 v26, 2, v26
	v_cmp_ne_u32_e64 s0, v28, v31
	v_and_b32_e32 v37, 7, v15
	v_cmp_eq_u32_e64 s1, 3, v34
	v_lshrrev_b32_e32 v15, 2, v15
	v_cndmask_b32_e64 v28, 0, 1, s0
	v_cmp_lt_i32_e64 s0, 5, v34
	v_cmp_lt_i32_e64 s2, 5, v37
	v_cmp_eq_u32_e64 s3, 3, v37
	v_or_b32_e32 v28, v33, v28
	s_or_b32 s0, s1, s0
	v_add_co_ci_u32_e64 v26, s0, 0, v26, s0
	s_or_b32 s0, s3, s2
	v_add_co_ci_u32_e64 v15, s0, 0, v15, s0
	v_cmp_gt_i32_e64 s0, 31, v27
	v_cndmask_b32_e64 v26, 0x7c00, v26, s0
	v_cmp_gt_i32_e64 s0, 31, v16
	v_cndmask_b32_e64 v15, 0x7c00, v15, s0
	v_cmp_eq_u32_e64 s0, 0x40f, v27
	v_cndmask_b32_e64 v20, v26, v20, s0
	v_cmp_gt_i32_e64 s0, 1, v32
	v_cndmask_b32_e64 v26, v36, v28, s0
	v_cmp_eq_u32_e64 s0, 0x40f, v16
	v_cndmask_b32_e64 v2, v15, v2, s0
	v_and_or_b32 v15, 0x8000, v21, v20
	v_lshrrev_b32_e32 v20, v29, v35
	v_and_b32_e32 v21, 7, v26
	v_and_or_b32 v2, 0x8000, v17, v2
	v_and_b32_e32 v17, 0xffff, v15
	v_add_co_u32 v15, s0, v4, v18
	v_add_co_ci_u32_e64 v16, s0, v6, v19, s0
	v_lshlrev_b32_e32 v6, v29, v20
	v_cmp_lt_i32_e64 s0, 5, v21
	v_cmp_eq_u32_e64 s1, 3, v21
	v_lshl_or_b32 v2, v2, 16, v17
	v_lshrrev_b32_e32 v17, 2, v26
	v_cmp_ne_u32_e64 s2, v6, v35
	v_add_nc_u32_e32 v4, 0xfffffc10, v30
	s_or_b32 s0, s1, s0
	global_store_dword v[15:16], v2, off
	v_add_co_ci_u32_e64 v2, s0, 0, v17, s0
	v_cndmask_b32_e64 v6, 0, 1, s2
	v_cmp_ne_u32_e64 s0, 0, v24
	v_cvt_f64_f32_e32 v[17:18], v0
	v_lshl_or_b32 v19, v4, 12, v22
	v_bfe_u32 v21, v14, 20, 11
	v_or_b32_e32 v6, v20, v6
	v_cndmask_b32_e64 v20, 0, 1, s0
	v_cmp_gt_i32_e64 s0, 1, v4
	v_lshrrev_b32_e32 v24, 16, v5
	s_mul_i32 s2, s8, 0x288
	v_cndmask_b32_e64 v0, v19, v6, s0
	v_and_or_b32 v6, 0x1ff, v14, v13
	v_cmp_gt_i32_e64 s0, 31, v32
	v_lshl_or_b32 v13, v20, 9, 0x7c00
	v_lshrrev_b32_e32 v20, 8, v14
	v_and_b32_e32 v19, 7, v0
	v_lshrrev_b32_e32 v0, 2, v0
	v_cndmask_b32_e64 v2, 0x7c00, v2, s0
	v_cmp_ne_u32_e64 s0, 0, v6
	v_mul_f16_sdwa v26, v47, v24 dst_sel:DWORD dst_unused:UNUSED_PAD src0_sel:WORD_1 src1_sel:DWORD
	v_cmp_eq_u32_e64 s1, 3, v19
	v_lshrrev_b32_e32 v14, 16, v14
	v_mul_f64 v[17:18], v[17:18], s[4:5]
	v_cndmask_b32_e64 v6, 0, 1, s0
	v_cmp_eq_u32_e64 s0, 0x40f, v32
	v_fmac_f16_e32 v26, v47, v5
	v_and_or_b32 v6, 0xffe, v20, v6
	v_cndmask_b32_e64 v2, v2, v13, s0
	v_cmp_lt_i32_e64 s0, 5, v19
	v_sub_nc_u32_e32 v20, 0x3f1, v21
	v_lshrrev_b32_e32 v13, 16, v25
	v_or_b32_e32 v19, 0x1000, v6
	v_add_nc_u32_e32 v21, 0xfffffc10, v21
	s_or_b32 s0, s1, s0
	v_med3_i32 v20, v20, 0, 13
	v_add_co_ci_u32_e64 v0, s0, 0, v0, s0
	v_cmp_ne_u32_e64 s0, 0, v22
	v_and_or_b32 v2, 0x8000, v13, v2
	v_lshrrev_b32_e32 v25, v20, v19
	s_mul_hi_u32 s1, s8, 0x288
	v_cndmask_b32_e64 v22, 0, 1, s0
	v_cmp_gt_i32_e64 s0, 31, v4
	v_lshlrev_b32_e32 v13, v20, v25
	v_and_or_b32 v17, 0x1ff, v18, v17
	v_cvt_f32_f16_e32 v20, v26
	v_lshl_or_b32 v22, v22, 9, 0x7c00
	v_cndmask_b32_e64 v0, 0x7c00, v0, s0
	v_cmp_eq_u32_e64 s0, 0x40f, v4
	v_lshrrev_b32_e32 v4, 16, v23
	v_bfe_u32 v23, v18, 20, 11
	v_and_b32_e32 v2, 0xffff, v2
	v_cndmask_b32_e64 v0, v0, v22, s0
	v_cmp_ne_u32_e64 s0, v13, v19
	v_cvt_f64_f32_e32 v[19:20], v20
	v_lshrrev_b32_e32 v22, 8, v18
	v_and_or_b32 v0, 0x8000, v4, v0
	v_cndmask_b32_e64 v13, 0, 1, s0
	v_cmp_ne_u32_e64 s0, 0, v17
	v_or_b32_e32 v4, v25, v13
	v_lshl_or_b32 v13, v21, 12, v6
	v_cndmask_b32_e64 v17, 0, 1, s0
	v_cmp_gt_i32_e64 s0, 1, v21
	v_and_or_b32 v17, 0xffe, v22, v17
	v_cndmask_b32_e64 v13, v13, v4, s0
	v_sub_nc_u32_e32 v4, 0x3f1, v23
	s_mul_i32 s0, s9, 0x288
	v_add_nc_u32_e32 v23, 0xfffffc10, v23
	v_or_b32_e32 v25, 0x1000, v17
	v_and_b32_e32 v22, 7, v13
	v_med3_i32 v26, v4, 0, 13
	s_add_i32 s3, s1, s0
	v_lshrrev_b32_e32 v13, 2, v13
	s_lshl_b64 s[12:13], s[2:3], 2
	v_cmp_lt_i32_e64 s0, 5, v22
	v_lshrrev_b32_e32 v27, v26, v25
	v_cmp_eq_u32_e64 s1, 3, v22
	v_mul_f16_sdwa v22, v47, v5 dst_sel:DWORD dst_unused:UNUSED_PAD src0_sel:WORD_1 src1_sel:DWORD
	v_mul_f64 v[4:5], v[19:20], s[4:5]
	v_lshlrev_b32_e32 v20, v26, v27
	s_or_b32 s0, s1, s0
	v_fma_f16 v19, v47, v24, -v22
	v_add_co_ci_u32_e64 v13, s0, 0, v13, s0
	v_cmp_ne_u32_e64 s0, v20, v25
	v_lshl_or_b32 v24, v23, 12, v17
	v_cvt_f32_f16_e32 v19, v19
	v_cndmask_b32_e64 v22, 0, 1, s0
	v_cmp_ne_u32_e64 s0, 0, v6
	v_cvt_f64_f32_e32 v[19:20], v19
	v_or_b32_e32 v22, v27, v22
	v_cndmask_b32_e64 v6, 0, 1, s0
	v_cmp_gt_i32_e64 s0, 31, v21
	v_and_or_b32 v4, 0x1ff, v5, v4
	v_lshl_or_b32 v6, v6, 9, 0x7c00
	v_cndmask_b32_e64 v13, 0x7c00, v13, s0
	v_cmp_gt_i32_e64 s0, 1, v23
	v_cndmask_b32_e64 v22, v24, v22, s0
	v_cmp_eq_u32_e64 s0, 0x40f, v21
	v_lshl_or_b32 v24, v0, 16, v2
	v_and_b32_e32 v2, 7, v22
	v_cndmask_b32_e64 v0, v13, v6, s0
	v_cmp_ne_u32_e64 s0, 0, v4
	v_lshrrev_b32_e32 v6, 8, v5
	v_bfe_u32 v13, v5, 20, 11
	v_cmp_eq_u32_e64 s1, 3, v2
	v_mul_f64 v[19:20], v[19:20], s[4:5]
	v_cndmask_b32_e64 v4, 0, 1, s0
	v_cmp_lt_i32_e64 s0, 5, v2
	v_lshrrev_b32_e32 v2, 2, v22
	v_lshrrev_b32_e32 v22, 16, v3
	v_and_or_b32 v0, 0x8000, v14, v0
	v_and_or_b32 v4, 0xffe, v6, v4
	v_sub_nc_u32_e32 v6, 0x3f1, v13
	s_or_b32 s0, s1, s0
	v_lshrrev_b32_e32 v5, 16, v5
	v_add_co_ci_u32_e64 v2, s0, 0, v2, s0
	v_cmp_ne_u32_e64 s0, 0, v17
	v_or_b32_e32 v21, 0x1000, v4
	v_med3_i32 v6, v6, 0, 13
	v_and_b32_e32 v0, 0xffff, v0
	v_cndmask_b32_e64 v17, 0, 1, s0
	v_cmp_gt_i32_e64 s0, 31, v23
	v_lshrrev_b32_e32 v25, v6, v21
	v_lshl_or_b32 v17, v17, 9, 0x7c00
	v_cndmask_b32_e64 v2, 0x7c00, v2, s0
	v_cmp_eq_u32_e64 s0, 0x40f, v23
	v_lshlrev_b32_e32 v6, v6, v25
	v_and_or_b32 v14, 0x1ff, v20, v19
	v_add_nc_u32_e32 v19, 0xfffffc10, v13
	v_cndmask_b32_e64 v2, v2, v17, s0
	v_lshrrev_b32_e32 v17, 16, v18
	v_mul_f16_sdwa v18, v46, v22 dst_sel:DWORD dst_unused:UNUSED_PAD src0_sel:WORD_1 src1_sel:DWORD
	v_cmp_ne_u32_e64 s0, v6, v21
	v_bfe_u32 v21, v20, 20, 11
	v_lshl_or_b32 v23, v19, 12, v4
	v_and_or_b32 v2, 0x8000, v17, v2
	v_fmac_f16_e32 v18, v46, v3
	v_cndmask_b32_e64 v6, 0, 1, s0
	v_cmp_ne_u32_e64 s0, 0, v14
	v_mul_f16_sdwa v3, v46, v3 dst_sel:DWORD dst_unused:UNUSED_PAD src0_sel:WORD_1 src1_sel:DWORD
	v_lshl_or_b32 v27, v2, 16, v0
	v_cvt_f32_f16_e32 v13, v18
	v_lshrrev_b32_e32 v18, 8, v20
	v_cndmask_b32_e64 v17, 0, 1, s0
	v_or_b32_e32 v6, v25, v6
	v_cmp_gt_i32_e64 s0, 1, v19
	v_cvt_f64_f32_e32 v[13:14], v13
	v_fma_f16 v3, v46, v22, -v3
	v_and_or_b32 v25, 0xffe, v18, v17
	v_sub_nc_u32_e32 v17, 0x3f1, v21
	v_cndmask_b32_e64 v6, v23, v6, s0
	v_add_co_u32 v15, s0, v15, s12
	v_or_b32_e32 v23, 0x1000, v25
	v_med3_i32 v26, v17, 0, 13
	v_add_co_ci_u32_e64 v16, s0, s13, v16, s0
	v_and_b32_e32 v0, 7, v6
	v_add_co_u32 v17, s0, v15, s12
	v_lshrrev_b32_e32 v2, v26, v23
	v_add_co_ci_u32_e64 v18, s0, s13, v16, s0
	v_cmp_lt_i32_e64 s0, 5, v0
	v_cmp_eq_u32_e64 s1, 3, v0
	v_lshlrev_b32_e32 v26, v26, v2
	v_lshrrev_b32_e32 v0, 2, v6
	v_add_nc_u32_e32 v21, 0xfffffc10, v21
	v_mul_f64 v[13:14], v[13:14], s[4:5]
	s_or_b32 s0, s1, s0
	v_cmp_ne_u32_e64 s2, v26, v23
	v_add_co_ci_u32_e64 v0, s0, 0, v0, s0
	v_cmp_ne_u32_e64 s0, 0, v4
	v_lshrrev_b32_e32 v23, 16, v1
	v_cndmask_b32_e64 v6, 0, 1, s2
	v_lshrrev_b32_e32 v20, 16, v20
	v_cndmask_b32_e64 v4, 0, 1, s0
	v_cmp_gt_i32_e64 s0, 1, v21
	v_or_b32_e32 v2, v2, v6
	v_lshl_or_b32 v6, v21, 12, v25
	v_cndmask_b32_e64 v6, v6, v2, s0
	v_cmp_gt_i32_e64 s0, 31, v19
	v_lshl_or_b32 v2, v4, 9, 0x7c00
	v_and_or_b32 v13, 0x1ff, v14, v13
	v_and_b32_e32 v4, 7, v6
	v_cndmask_b32_e64 v0, 0x7c00, v0, s0
	v_cmp_eq_u32_e64 s0, 0x40f, v19
	v_lshrrev_b32_e32 v19, 8, v14
	v_cmp_ne_u32_e64 s1, 0, v13
	v_bfe_u32 v22, v14, 20, 11
	v_lshrrev_b32_e32 v14, 16, v14
	v_cndmask_b32_e64 v0, v0, v2, s0
	v_cvt_f32_f16_e32 v2, v3
	v_cmp_lt_i32_e64 s0, 5, v4
	v_cndmask_b32_e64 v13, 0, 1, s1
	v_cmp_eq_u32_e64 s1, 3, v4
	v_lshrrev_b32_e32 v4, 2, v6
	v_cvt_f64_f32_e32 v[2:3], v2
	v_and_or_b32 v0, 0x8000, v5, v0
	v_and_or_b32 v6, 0xffe, v19, v13
	s_or_b32 s0, s1, s0
	v_mul_f16_sdwa v19, v45, v23 dst_sel:DWORD dst_unused:UNUSED_PAD src0_sel:WORD_1 src1_sel:DWORD
	v_add_co_ci_u32_e64 v4, s0, 0, v4, s0
	v_cmp_ne_u32_e64 s0, 0, v25
	v_sub_nc_u32_e32 v13, 0x3f1, v22
	v_fmac_f16_e32 v19, v45, v1
	v_or_b32_e32 v26, 0x1000, v6
	v_mul_f16_sdwa v1, v45, v1 dst_sel:DWORD dst_unused:UNUSED_PAD src0_sel:WORD_1 src1_sel:DWORD
	v_cndmask_b32_e64 v25, 0, 1, s0
	v_cmp_gt_i32_e64 s0, 31, v21
	v_med3_i32 v13, v13, 0, 13
	s_mul_i32 s1, s9, 0xfffffbe3
	v_fma_f16 v1, v45, v23, -v1
	v_cndmask_b32_e64 v28, 0x7c00, v4, s0
	v_cvt_f32_f16_e32 v4, v19
	v_lshrrev_b32_e32 v29, v13, v26
	v_lshl_or_b32 v19, v25, 9, 0x7c00
	v_mul_f64 v[2:3], v[2:3], s[4:5]
	v_cmp_eq_u32_e64 s0, 0x40f, v21
	v_cvt_f64_f32_e32 v[4:5], v4
	v_lshlrev_b32_e32 v13, v13, v29
	v_add_nc_u32_e32 v21, 0xfffffc10, v22
	v_cvt_f32_f16_e32 v1, v1
	v_cndmask_b32_e64 v19, v28, v19, s0
	v_cmp_ne_u32_e64 s0, v13, v26
	v_and_or_b32 v19, 0x8000, v20, v19
	v_lshl_or_b32 v20, v21, 12, v6
	v_cndmask_b32_e64 v13, 0, 1, s0
	s_mul_hi_u32 s0, s8, 0xfffffbe3
	s_sub_i32 s2, s0, s8
	v_cmp_gt_i32_e64 s0, 1, v21
	v_or_b32_e32 v13, v29, v13
	s_add_i32 s3, s2, s1
	s_mul_i32 s2, s8, 0xfffffbe3
	v_and_or_b32 v2, 0x1ff, v3, v2
	v_cndmask_b32_e64 v13, v20, v13, s0
	v_mul_f64 v[4:5], v[4:5], s[4:5]
	v_and_b32_e32 v20, 0xffff, v0
	v_cvt_f64_f32_e32 v[0:1], v1
	v_cmp_ne_u32_e64 s0, 0, v2
	v_and_b32_e32 v22, 7, v13
	v_lshrrev_b32_e32 v23, 8, v3
	v_bfe_u32 v25, v3, 20, 11
	v_lshrrev_b32_e32 v13, 2, v13
	v_cndmask_b32_e64 v2, 0, 1, s0
	v_cmp_lt_i32_e64 s0, 5, v22
	v_cmp_eq_u32_e64 s1, 3, v22
	v_lshl_or_b32 v19, v19, 16, v20
	v_sub_nc_u32_e32 v20, 0x3f1, v25
	v_and_or_b32 v2, 0xffe, v23, v2
	s_lshl_b64 s[6:7], s[2:3], 2
	s_or_b32 s0, s1, s0
	v_lshrrev_b32_e32 v3, 16, v3
	v_add_co_ci_u32_e64 v13, s0, 0, v13, s0
	v_or_b32_e32 v22, 0x1000, v2
	v_med3_i32 v20, v20, 0, 13
	v_cmp_ne_u32_e64 s0, 0, v6
	v_and_or_b32 v4, 0x1ff, v5, v4
	v_lshrrev_b32_e32 v26, 8, v5
	v_mul_f64 v[0:1], v[0:1], s[4:5]
	v_lshrrev_b32_e32 v23, v20, v22
	v_cndmask_b32_e64 v6, 0, 1, s0
	v_cmp_gt_i32_e64 s0, 31, v21
	v_bfe_u32 v28, v5, 20, 11
	v_lshrrev_b32_e32 v5, 16, v5
	v_lshlrev_b32_e32 v20, v20, v23
	v_lshl_or_b32 v6, v6, 9, 0x7c00
	v_cndmask_b32_e64 v13, 0x7c00, v13, s0
	v_cmp_ne_u32_e64 s0, 0, v4
	v_cndmask_b32_e64 v4, 0, 1, s0
	v_cmp_ne_u32_e64 s0, v20, v22
	v_add_nc_u32_e32 v22, 0xfffffc10, v25
	v_sub_nc_u32_e32 v25, 0x3f1, v28
	v_and_or_b32 v4, 0xffe, v26, v4
	v_cndmask_b32_e64 v20, 0, 1, s0
	v_cmp_eq_u32_e64 s0, 0x40f, v21
	v_and_or_b32 v0, 0x1ff, v1, v0
	v_bfe_u32 v26, v1, 20, 11
	v_or_b32_e32 v21, 0x1000, v4
	v_cndmask_b32_e64 v6, v13, v6, s0
	v_or_b32_e32 v13, v23, v20
	v_lshl_or_b32 v20, v22, 12, v2
	v_med3_i32 v23, v25, 0, 13
	v_cmp_gt_i32_e64 s0, 1, v22
	v_lshrrev_b32_e32 v25, 8, v1
	v_and_or_b32 v6, 0x8000, v14, v6
	v_sub_nc_u32_e32 v14, 0x3f1, v26
	v_lshrrev_b32_e32 v1, 16, v1
	v_cndmask_b32_e64 v13, v20, v13, s0
	v_lshrrev_b32_e32 v20, v23, v21
	v_cmp_ne_u32_e64 s0, 0, v0
	v_med3_i32 v14, v14, 0, 13
	v_and_b32_e32 v6, 0xffff, v6
	v_and_b32_e32 v29, 7, v13
	v_lshlrev_b32_e32 v23, v23, v20
	v_cndmask_b32_e64 v0, 0, 1, s0
	v_lshrrev_b32_e32 v13, 2, v13
	v_cmp_lt_i32_e64 s0, 5, v29
	v_cmp_ne_u32_e64 s1, v23, v21
	v_and_or_b32 v0, 0xffe, v25, v0
	v_add_nc_u32_e32 v25, 0xfffffc10, v28
	v_cndmask_b32_e64 v21, 0, 1, s1
	v_cmp_eq_u32_e64 s1, 3, v29
	v_or_b32_e32 v23, 0x1000, v0
	v_lshl_or_b32 v28, v25, 12, v4
	v_or_b32_e32 v20, v20, v21
	s_or_b32 s0, s1, s0
	v_lshrrev_b32_e32 v21, v14, v23
	v_add_co_ci_u32_e64 v13, s0, 0, v13, s0
	v_cmp_gt_i32_e64 s0, 1, v25
	v_lshlrev_b32_e32 v14, v14, v21
	v_cndmask_b32_e64 v20, v28, v20, s0
	v_cmp_ne_u32_e64 s0, 0, v2
	v_cndmask_b32_e64 v2, 0, 1, s0
	v_cmp_ne_u32_e64 s0, v14, v23
	v_add_nc_u32_e32 v23, 0xfffffc10, v26
	v_and_b32_e32 v26, 7, v20
	v_lshl_or_b32 v2, v2, 9, 0x7c00
	v_cndmask_b32_e64 v14, 0, 1, s0
	v_cmp_gt_i32_e64 s0, 31, v22
	v_cmp_gt_i32_e64 s2, 1, v23
	v_cmp_eq_u32_e64 s1, 3, v26
	v_or_b32_e32 v14, v21, v14
	v_lshl_or_b32 v21, v23, 12, v0
	v_cndmask_b32_e64 v13, 0x7c00, v13, s0
	v_cmp_lt_i32_e64 s0, 5, v26
	v_cndmask_b32_e64 v14, v21, v14, s2
	v_cmp_eq_u32_e64 s2, 0x40f, v22
	s_or_b32 s0, s1, s0
	v_cndmask_b32_e64 v2, v13, v2, s2
	v_lshrrev_b32_e32 v13, 2, v20
	v_and_b32_e32 v20, 7, v14
	v_lshrrev_b32_e32 v14, 2, v14
	v_cmp_gt_i32_e64 s2, 31, v25
	v_add_co_ci_u32_e64 v13, s0, 0, v13, s0
	v_cmp_ne_u32_e64 s0, 0, v4
	v_cmp_eq_u32_e64 s1, 3, v20
	v_cndmask_b32_e64 v13, 0x7c00, v13, s2
	v_cndmask_b32_e64 v4, 0, 1, s0
	v_cmp_lt_i32_e64 s0, 5, v20
	v_lshl_or_b32 v4, v4, 9, 0x7c00
	s_or_b32 s0, s1, s0
	v_add_co_ci_u32_e64 v14, s0, 0, v14, s0
	v_cmp_ne_u32_e64 s0, 0, v0
	v_cndmask_b32_e64 v0, 0, 1, s0
	v_cmp_eq_u32_e64 s0, 0x40f, v25
	v_lshl_or_b32 v0, v0, 9, 0x7c00
	v_cndmask_b32_e64 v4, v13, v4, s0
	v_cmp_gt_i32_e64 s0, 31, v23
	v_and_or_b32 v4, 0x8000, v5, v4
	v_cndmask_b32_e64 v13, 0x7c00, v14, s0
	v_cmp_eq_u32_e64 s0, 0x40f, v23
	v_and_or_b32 v14, 0x8000, v3, v2
	v_cndmask_b32_e64 v0, v13, v0, s0
	v_add_co_u32 v2, s0, v17, s6
	v_add_co_ci_u32_e64 v3, s0, s7, v18, s0
	v_and_or_b32 v0, 0x8000, v1, v0
	v_and_b32_e32 v1, 0xffff, v4
	v_add_co_u32 v4, s0, v2, s12
	v_add_co_ci_u32_e64 v5, s0, s13, v3, s0
	v_lshl_or_b32 v13, v0, 16, v1
	v_add_co_u32 v0, s0, v4, s12
	v_add_co_ci_u32_e64 v1, s0, s13, v5, s0
	v_lshl_or_b32 v6, v14, 16, v6
	global_store_dword v[15:16], v24, off
	global_store_dword v[17:18], v27, off
	;; [unrolled: 1-line block ×5, first 2 shown]
	s_and_b32 exec_lo, exec_lo, vcc_lo
	s_cbranch_execz .LBB0_47
; %bb.46:
	s_clause 0x2
	global_load_dword v2, v[11:12], off offset:1944
	global_load_dword v4, v[9:10], off offset:440
	;; [unrolled: 1-line block ×3, first 2 shown]
	ds_read_b32 v3, v44 offset:1944
	ds_read_b32 v5, v44 offset:4536
	;; [unrolled: 1-line block ×3, first 2 shown]
	v_add_co_u32 v0, vcc_lo, v0, s6
	v_add_co_ci_u32_e32 v1, vcc_lo, s7, v1, vcc_lo
	v_add_co_u32 v14, vcc_lo, v0, s12
	v_add_co_ci_u32_e32 v15, vcc_lo, s13, v1, vcc_lo
	s_waitcnt lgkmcnt(2)
	v_lshrrev_b32_e32 v8, 16, v3
	s_waitcnt lgkmcnt(1)
	v_lshrrev_b32_e32 v10, 16, v5
	;; [unrolled: 2-line block ×3, first 2 shown]
	s_waitcnt vmcnt(2)
	v_mul_f16_sdwa v9, v8, v2 dst_sel:DWORD dst_unused:UNUSED_PAD src0_sel:DWORD src1_sel:WORD_1
	v_mul_f16_sdwa v11, v3, v2 dst_sel:DWORD dst_unused:UNUSED_PAD src0_sel:DWORD src1_sel:WORD_1
	s_waitcnt vmcnt(1)
	v_mul_f16_sdwa v13, v10, v4 dst_sel:DWORD dst_unused:UNUSED_PAD src0_sel:DWORD src1_sel:WORD_1
	v_fmac_f16_e32 v9, v3, v2
	v_fma_f16 v2, v2, v8, -v11
	v_mul_f16_sdwa v8, v5, v4 dst_sel:DWORD dst_unused:UNUSED_PAD src0_sel:DWORD src1_sel:WORD_1
	v_fmac_f16_e32 v13, v5, v4
	v_cvt_f32_f16_e32 v3, v9
	v_cvt_f32_f16_e32 v5, v2
	s_waitcnt vmcnt(0)
	v_mul_f16_sdwa v9, v12, v6 dst_sel:DWORD dst_unused:UNUSED_PAD src0_sel:DWORD src1_sel:WORD_1
	v_fma_f16 v8, v4, v10, -v8
	v_mul_f16_sdwa v10, v7, v6 dst_sel:DWORD dst_unused:UNUSED_PAD src0_sel:DWORD src1_sel:WORD_1
	v_cvt_f64_f32_e32 v[2:3], v3
	v_cvt_f32_f16_e32 v11, v13
	v_cvt_f64_f32_e32 v[4:5], v5
	v_fmac_f16_e32 v9, v7, v6
	v_cvt_f32_f16_e32 v8, v8
	v_fma_f16 v10, v6, v12, -v10
	v_cvt_f64_f32_e32 v[6:7], v11
	v_cvt_f32_f16_e32 v11, v9
	v_cvt_f64_f32_e32 v[8:9], v8
	v_cvt_f32_f16_e32 v12, v10
	v_cvt_f64_f32_e32 v[10:11], v11
	v_cvt_f64_f32_e32 v[12:13], v12
	v_mul_f64 v[2:3], v[2:3], s[4:5]
	v_mul_f64 v[4:5], v[4:5], s[4:5]
	;; [unrolled: 1-line block ×6, first 2 shown]
	v_and_or_b32 v2, 0x1ff, v3, v2
	v_lshrrev_b32_e32 v16, 8, v3
	v_and_or_b32 v4, 0x1ff, v5, v4
	v_bfe_u32 v17, v3, 20, 11
	v_lshrrev_b32_e32 v18, 8, v5
	v_cmp_ne_u32_e32 vcc_lo, 0, v2
	v_and_or_b32 v6, 0x1ff, v7, v6
	v_bfe_u32 v19, v5, 20, 11
	v_lshrrev_b32_e32 v20, 8, v7
	v_and_or_b32 v8, 0x1ff, v9, v8
	v_cndmask_b32_e64 v2, 0, 1, vcc_lo
	v_cmp_ne_u32_e32 vcc_lo, 0, v4
	v_bfe_u32 v21, v7, 20, 11
	v_and_or_b32 v10, 0x1ff, v11, v10
	v_bfe_u32 v23, v9, 20, 11
	v_and_or_b32 v12, 0x1ff, v13, v12
	v_cndmask_b32_e64 v4, 0, 1, vcc_lo
	v_cmp_ne_u32_e32 vcc_lo, 0, v6
	v_and_or_b32 v2, 0xffe, v16, v2
	v_sub_nc_u32_e32 v28, 0x3f1, v17
	v_add_nc_u32_e32 v17, 0xfffffc10, v17
	v_sub_nc_u32_e32 v29, 0x3f1, v19
	v_cndmask_b32_e64 v6, 0, 1, vcc_lo
	v_cmp_ne_u32_e32 vcc_lo, 0, v8
	v_and_or_b32 v4, 0xffe, v18, v4
	v_lshrrev_b32_e32 v22, 8, v9
	v_bfe_u32 v25, v11, 20, 11
	v_bfe_u32 v27, v13, 20, 11
	v_cndmask_b32_e64 v8, 0, 1, vcc_lo
	v_cmp_ne_u32_e32 vcc_lo, 0, v10
	v_add_nc_u32_e32 v19, 0xfffffc10, v19
	v_sub_nc_u32_e32 v30, 0x3f1, v21
	v_sub_nc_u32_e32 v31, 0x3f1, v23
	v_med3_i32 v16, v28, 0, 13
	v_cndmask_b32_e64 v10, 0, 1, vcc_lo
	v_cmp_ne_u32_e32 vcc_lo, 0, v12
	v_med3_i32 v18, v29, 0, 13
	v_and_or_b32 v6, 0xffe, v20, v6
	v_or_b32_e32 v28, 0x1000, v2
	v_lshl_or_b32 v29, v17, 12, v2
	v_cndmask_b32_e64 v12, 0, 1, vcc_lo
	v_cmp_ne_u32_e32 vcc_lo, 0, v2
	v_lshrrev_b32_e32 v24, 8, v11
	v_lshrrev_b32_e32 v26, 8, v13
	v_add_nc_u32_e32 v21, 0xfffffc10, v21
	v_sub_nc_u32_e32 v32, 0x3f1, v25
	v_cndmask_b32_e64 v2, 0, 1, vcc_lo
	v_cmp_ne_u32_e32 vcc_lo, 0, v4
	v_sub_nc_u32_e32 v33, 0x3f1, v27
	v_med3_i32 v20, v30, 0, 13
	v_and_or_b32 v8, 0xffe, v22, v8
	v_med3_i32 v22, v31, 0, 13
	v_or_b32_e32 v30, 0x1000, v4
	v_lshl_or_b32 v31, v19, 12, v4
	v_cndmask_b32_e64 v4, 0, 1, vcc_lo
	v_cmp_ne_u32_e32 vcc_lo, 0, v6
	v_add_nc_u32_e32 v23, 0xfffffc10, v23
	v_and_or_b32 v10, 0xffe, v24, v10
	v_med3_i32 v24, v32, 0, 13
	v_and_or_b32 v12, 0xffe, v26, v12
	v_med3_i32 v26, v33, 0, 13
	v_or_b32_e32 v32, 0x1000, v6
	v_lshl_or_b32 v33, v21, 12, v6
	v_cndmask_b32_e64 v6, 0, 1, vcc_lo
	v_cmp_ne_u32_e32 vcc_lo, 0, v8
	v_add_nc_u32_e32 v25, 0xfffffc10, v25
	v_or_b32_e32 v34, 0x1000, v8
	v_lshl_or_b32 v35, v23, 12, v8
	v_lshrrev_b32_e32 v40, v16, v28
	v_cndmask_b32_e64 v8, 0, 1, vcc_lo
	v_cmp_ne_u32_e32 vcc_lo, 0, v10
	v_add_nc_u32_e32 v27, 0xfffffc10, v27
	v_or_b32_e32 v36, 0x1000, v10
	v_lshl_or_b32 v37, v25, 12, v10
	v_lshrrev_b32_e32 v41, v18, v30
	v_cndmask_b32_e64 v10, 0, 1, vcc_lo
	v_cmp_ne_u32_e32 vcc_lo, 0, v12
	v_lshlrev_b32_e32 v16, v16, v40
	v_or_b32_e32 v38, 0x1000, v12
	v_lshl_or_b32 v39, v27, 12, v12
	v_lshrrev_b32_e32 v42, v20, v32
	v_cndmask_b32_e64 v12, 0, 1, vcc_lo
	v_lshlrev_b32_e32 v18, v18, v41
	v_cmp_ne_u32_e32 vcc_lo, v16, v28
	v_lshrrev_b32_e32 v43, v22, v34
	v_lshlrev_b32_e32 v20, v20, v42
	v_lshrrev_b32_e32 v44, v24, v36
	v_lshrrev_b32_e32 v45, v26, v38
	v_cndmask_b32_e64 v16, 0, 1, vcc_lo
	v_cmp_ne_u32_e32 vcc_lo, v18, v30
	v_lshlrev_b32_e32 v22, v22, v43
	v_lshlrev_b32_e32 v24, v24, v44
	;; [unrolled: 1-line block ×3, first 2 shown]
	v_or_b32_e32 v16, v40, v16
	v_cndmask_b32_e64 v18, 0, 1, vcc_lo
	v_cmp_ne_u32_e32 vcc_lo, v20, v32
	v_lshl_or_b32 v2, v2, 9, 0x7c00
	v_lshl_or_b32 v4, v4, 9, 0x7c00
	;; [unrolled: 1-line block ×3, first 2 shown]
	v_or_b32_e32 v18, v41, v18
	v_cndmask_b32_e64 v20, 0, 1, vcc_lo
	v_cmp_ne_u32_e32 vcc_lo, v22, v34
	v_lshl_or_b32 v8, v8, 9, 0x7c00
	v_lshl_or_b32 v10, v10, 9, 0x7c00
	v_lshrrev_b32_e32 v3, 16, v3
	v_or_b32_e32 v20, v42, v20
	v_cndmask_b32_e64 v22, 0, 1, vcc_lo
	v_cmp_ne_u32_e32 vcc_lo, v24, v36
	v_lshrrev_b32_e32 v7, 16, v7
	v_lshrrev_b32_e32 v5, 16, v5
	;; [unrolled: 1-line block ×3, first 2 shown]
	v_or_b32_e32 v22, v43, v22
	v_cndmask_b32_e64 v24, 0, 1, vcc_lo
	v_cmp_ne_u32_e32 vcc_lo, v26, v38
	v_lshl_or_b32 v12, v12, 9, 0x7c00
	v_lshrrev_b32_e32 v9, 16, v9
	v_lshrrev_b32_e32 v13, 16, v13
	v_or_b32_e32 v24, v44, v24
	v_cndmask_b32_e64 v26, 0, 1, vcc_lo
	v_cmp_gt_i32_e32 vcc_lo, 1, v17
	v_or_b32_e32 v26, v45, v26
	v_cndmask_b32_e32 v16, v29, v16, vcc_lo
	v_cmp_gt_i32_e32 vcc_lo, 1, v19
	v_and_b32_e32 v28, 7, v16
	v_cndmask_b32_e32 v18, v31, v18, vcc_lo
	v_cmp_gt_i32_e32 vcc_lo, 1, v21
	v_lshrrev_b32_e32 v16, 2, v16
	v_cmp_eq_u32_e64 s0, 3, v28
	v_and_b32_e32 v29, 7, v18
	v_cndmask_b32_e32 v20, v33, v20, vcc_lo
	v_cmp_gt_i32_e32 vcc_lo, 1, v23
	v_lshrrev_b32_e32 v18, 2, v18
	v_cmp_lt_i32_e64 s1, 5, v29
	v_and_b32_e32 v30, 7, v20
	v_cndmask_b32_e32 v22, v35, v22, vcc_lo
	v_cmp_gt_i32_e32 vcc_lo, 1, v25
	v_cmp_eq_u32_e64 s2, 3, v29
	v_lshrrev_b32_e32 v20, 2, v20
	v_cmp_lt_i32_e64 s3, 5, v30
	v_and_b32_e32 v31, 7, v22
	v_cndmask_b32_e32 v24, v37, v24, vcc_lo
	v_cmp_gt_i32_e32 vcc_lo, 1, v27
	v_cmp_eq_u32_e64 s4, 3, v30
	v_lshrrev_b32_e32 v22, 2, v22
	v_cmp_lt_i32_e64 s5, 5, v31
	v_and_b32_e32 v32, 7, v24
	v_cndmask_b32_e32 v26, v39, v26, vcc_lo
	v_cmp_lt_i32_e32 vcc_lo, 5, v28
	v_cmp_eq_u32_e64 s6, 3, v31
	v_lshrrev_b32_e32 v24, 2, v24
	v_cmp_lt_i32_e64 s7, 5, v32
	v_and_b32_e32 v33, 7, v26
	s_or_b32 vcc_lo, s0, vcc_lo
	v_cmp_eq_u32_e64 s8, 3, v32
	v_add_co_ci_u32_e32 v16, vcc_lo, 0, v16, vcc_lo
	s_or_b32 vcc_lo, s2, s1
	v_cmp_lt_i32_e64 s9, 5, v33
	v_add_co_ci_u32_e32 v18, vcc_lo, 0, v18, vcc_lo
	s_or_b32 vcc_lo, s4, s3
	v_cmp_eq_u32_e64 s10, 3, v33
	v_add_co_ci_u32_e32 v20, vcc_lo, 0, v20, vcc_lo
	s_or_b32 vcc_lo, s6, s5
	v_lshrrev_b32_e32 v26, 2, v26
	v_add_co_ci_u32_e32 v22, vcc_lo, 0, v22, vcc_lo
	s_or_b32 vcc_lo, s8, s7
	v_add_co_ci_u32_e32 v24, vcc_lo, 0, v24, vcc_lo
	s_or_b32 vcc_lo, s10, s9
	v_add_co_ci_u32_e32 v26, vcc_lo, 0, v26, vcc_lo
	v_cmp_gt_i32_e32 vcc_lo, 31, v17
	v_cndmask_b32_e32 v16, 0x7c00, v16, vcc_lo
	v_cmp_gt_i32_e32 vcc_lo, 31, v19
	v_cndmask_b32_e32 v18, 0x7c00, v18, vcc_lo
	;; [unrolled: 2-line block ×6, first 2 shown]
	v_cmp_eq_u32_e32 vcc_lo, 0x40f, v17
	v_cndmask_b32_e32 v2, v16, v2, vcc_lo
	v_cmp_eq_u32_e32 vcc_lo, 0x40f, v19
	v_and_or_b32 v2, 0x8000, v3, v2
	v_cndmask_b32_e32 v4, v18, v4, vcc_lo
	v_cmp_eq_u32_e32 vcc_lo, 0x40f, v21
	v_and_or_b32 v4, 0x8000, v5, v4
	;; [unrolled: 3-line block ×4, first 2 shown]
	v_cndmask_b32_e32 v10, v24, v10, vcc_lo
	v_cmp_eq_u32_e32 vcc_lo, 0x40f, v27
	v_and_b32_e32 v8, 0xffff, v2
	v_and_b32_e32 v9, 0xffff, v3
	v_and_or_b32 v5, 0x8000, v11, v10
	v_cndmask_b32_e32 v12, v26, v12, vcc_lo
	v_add_co_u32 v2, vcc_lo, v14, s12
	v_lshl_or_b32 v4, v4, 16, v8
	v_and_b32_e32 v5, 0xffff, v5
	v_and_or_b32 v7, 0x8000, v13, v12
	v_lshl_or_b32 v6, v6, 16, v9
	v_add_co_ci_u32_e32 v3, vcc_lo, s13, v15, vcc_lo
	v_lshl_or_b32 v5, v7, 16, v5
	global_store_dword v[0:1], v4, off
	global_store_dword v[14:15], v6, off
	;; [unrolled: 1-line block ×3, first 2 shown]
.LBB0_47:
	s_endpgm
	.section	.rodata,"a",@progbits
	.p2align	6, 0x0
	.amdhsa_kernel bluestein_single_fwd_len1944_dim1_half_op_CI_CI
		.amdhsa_group_segment_fixed_size 7776
		.amdhsa_private_segment_fixed_size 0
		.amdhsa_kernarg_size 104
		.amdhsa_user_sgpr_count 6
		.amdhsa_user_sgpr_private_segment_buffer 1
		.amdhsa_user_sgpr_dispatch_ptr 0
		.amdhsa_user_sgpr_queue_ptr 0
		.amdhsa_user_sgpr_kernarg_segment_ptr 1
		.amdhsa_user_sgpr_dispatch_id 0
		.amdhsa_user_sgpr_flat_scratch_init 0
		.amdhsa_user_sgpr_private_segment_size 0
		.amdhsa_wavefront_size32 1
		.amdhsa_uses_dynamic_stack 0
		.amdhsa_system_sgpr_private_segment_wavefront_offset 0
		.amdhsa_system_sgpr_workgroup_id_x 1
		.amdhsa_system_sgpr_workgroup_id_y 0
		.amdhsa_system_sgpr_workgroup_id_z 0
		.amdhsa_system_sgpr_workgroup_info 0
		.amdhsa_system_vgpr_workitem_id 0
		.amdhsa_next_free_vgpr 92
		.amdhsa_next_free_sgpr 16
		.amdhsa_reserve_vcc 1
		.amdhsa_reserve_flat_scratch 0
		.amdhsa_float_round_mode_32 0
		.amdhsa_float_round_mode_16_64 0
		.amdhsa_float_denorm_mode_32 3
		.amdhsa_float_denorm_mode_16_64 3
		.amdhsa_dx10_clamp 1
		.amdhsa_ieee_mode 1
		.amdhsa_fp16_overflow 0
		.amdhsa_workgroup_processor_mode 1
		.amdhsa_memory_ordered 1
		.amdhsa_forward_progress 0
		.amdhsa_shared_vgpr_count 0
		.amdhsa_exception_fp_ieee_invalid_op 0
		.amdhsa_exception_fp_denorm_src 0
		.amdhsa_exception_fp_ieee_div_zero 0
		.amdhsa_exception_fp_ieee_overflow 0
		.amdhsa_exception_fp_ieee_underflow 0
		.amdhsa_exception_fp_ieee_inexact 0
		.amdhsa_exception_int_div_zero 0
	.end_amdhsa_kernel
	.text
.Lfunc_end0:
	.size	bluestein_single_fwd_len1944_dim1_half_op_CI_CI, .Lfunc_end0-bluestein_single_fwd_len1944_dim1_half_op_CI_CI
                                        ; -- End function
	.section	.AMDGPU.csdata,"",@progbits
; Kernel info:
; codeLenInByte = 16736
; NumSgprs: 18
; NumVgprs: 92
; ScratchSize: 0
; MemoryBound: 0
; FloatMode: 240
; IeeeMode: 1
; LDSByteSize: 7776 bytes/workgroup (compile time only)
; SGPRBlocks: 2
; VGPRBlocks: 11
; NumSGPRsForWavesPerEU: 18
; NumVGPRsForWavesPerEU: 92
; Occupancy: 10
; WaveLimiterHint : 1
; COMPUTE_PGM_RSRC2:SCRATCH_EN: 0
; COMPUTE_PGM_RSRC2:USER_SGPR: 6
; COMPUTE_PGM_RSRC2:TRAP_HANDLER: 0
; COMPUTE_PGM_RSRC2:TGID_X_EN: 1
; COMPUTE_PGM_RSRC2:TGID_Y_EN: 0
; COMPUTE_PGM_RSRC2:TGID_Z_EN: 0
; COMPUTE_PGM_RSRC2:TIDIG_COMP_CNT: 0
	.text
	.p2alignl 6, 3214868480
	.fill 48, 4, 3214868480
	.type	__hip_cuid_9c805245b773f5ca,@object ; @__hip_cuid_9c805245b773f5ca
	.section	.bss,"aw",@nobits
	.globl	__hip_cuid_9c805245b773f5ca
__hip_cuid_9c805245b773f5ca:
	.byte	0                               ; 0x0
	.size	__hip_cuid_9c805245b773f5ca, 1

	.ident	"AMD clang version 19.0.0git (https://github.com/RadeonOpenCompute/llvm-project roc-6.4.0 25133 c7fe45cf4b819c5991fe208aaa96edf142730f1d)"
	.section	".note.GNU-stack","",@progbits
	.addrsig
	.addrsig_sym __hip_cuid_9c805245b773f5ca
	.amdgpu_metadata
---
amdhsa.kernels:
  - .args:
      - .actual_access:  read_only
        .address_space:  global
        .offset:         0
        .size:           8
        .value_kind:     global_buffer
      - .actual_access:  read_only
        .address_space:  global
        .offset:         8
        .size:           8
        .value_kind:     global_buffer
      - .actual_access:  read_only
        .address_space:  global
        .offset:         16
        .size:           8
        .value_kind:     global_buffer
      - .actual_access:  read_only
        .address_space:  global
        .offset:         24
        .size:           8
        .value_kind:     global_buffer
      - .actual_access:  read_only
        .address_space:  global
        .offset:         32
        .size:           8
        .value_kind:     global_buffer
      - .offset:         40
        .size:           8
        .value_kind:     by_value
      - .address_space:  global
        .offset:         48
        .size:           8
        .value_kind:     global_buffer
      - .address_space:  global
        .offset:         56
        .size:           8
        .value_kind:     global_buffer
      - .address_space:  global
        .offset:         64
        .size:           8
        .value_kind:     global_buffer
      - .address_space:  global
        .offset:         72
        .size:           8
        .value_kind:     global_buffer
      - .offset:         80
        .size:           4
        .value_kind:     by_value
      - .address_space:  global
        .offset:         88
        .size:           8
        .value_kind:     global_buffer
      - .address_space:  global
        .offset:         96
        .size:           8
        .value_kind:     global_buffer
    .group_segment_fixed_size: 7776
    .kernarg_segment_align: 8
    .kernarg_segment_size: 104
    .language:       OpenCL C
    .language_version:
      - 2
      - 0
    .max_flat_workgroup_size: 243
    .name:           bluestein_single_fwd_len1944_dim1_half_op_CI_CI
    .private_segment_fixed_size: 0
    .sgpr_count:     18
    .sgpr_spill_count: 0
    .symbol:         bluestein_single_fwd_len1944_dim1_half_op_CI_CI.kd
    .uniform_work_group_size: 1
    .uses_dynamic_stack: false
    .vgpr_count:     92
    .vgpr_spill_count: 0
    .wavefront_size: 32
    .workgroup_processor_mode: 1
amdhsa.target:   amdgcn-amd-amdhsa--gfx1030
amdhsa.version:
  - 1
  - 2
...

	.end_amdgpu_metadata
